;; amdgpu-corpus repo=ROCm/rocFFT kind=compiled arch=gfx906 opt=O3
	.text
	.amdgcn_target "amdgcn-amd-amdhsa--gfx906"
	.amdhsa_code_object_version 6
	.protected	bluestein_single_back_len1950_dim1_half_op_CI_CI ; -- Begin function bluestein_single_back_len1950_dim1_half_op_CI_CI
	.globl	bluestein_single_back_len1950_dim1_half_op_CI_CI
	.p2align	8
	.type	bluestein_single_back_len1950_dim1_half_op_CI_CI,@function
bluestein_single_back_len1950_dim1_half_op_CI_CI: ; @bluestein_single_back_len1950_dim1_half_op_CI_CI
; %bb.0:
	s_load_dwordx4 s[0:3], s[4:5], 0x28
	v_mul_u32_u24_e32 v1, 0x151, v0
	v_add_u32_sdwa v16, s6, v1 dst_sel:DWORD dst_unused:UNUSED_PAD src0_sel:DWORD src1_sel:WORD_1
	v_mov_b32_e32 v17, 0
	s_waitcnt lgkmcnt(0)
	v_cmp_gt_u64_e32 vcc, s[0:1], v[16:17]
	s_and_saveexec_b64 s[0:1], vcc
	s_cbranch_execz .LBB0_23
; %bb.1:
	s_load_dwordx2 s[6:7], s[4:5], 0x0
	s_load_dwordx2 s[12:13], s[4:5], 0x38
	s_movk_i32 s0, 0xc3
	v_mul_lo_u16_sdwa v1, v1, s0 dst_sel:DWORD dst_unused:UNUSED_PAD src0_sel:WORD_1 src1_sel:DWORD
	v_sub_u16_e32 v38, v0, v1
	s_movk_i32 s0, 0x96
	v_cmp_gt_u16_e64 s[0:1], s0, v38
	v_lshlrev_b32_e32 v37, 2, v38
	s_and_saveexec_b64 s[14:15], s[0:1]
	s_cbranch_execz .LBB0_3
; %bb.2:
	s_load_dwordx2 s[8:9], s[4:5], 0x18
	s_waitcnt lgkmcnt(0)
	s_load_dwordx4 s[8:11], s[8:9], 0x0
	s_waitcnt lgkmcnt(0)
	v_mad_u64_u32 v[0:1], s[16:17], s10, v16, 0
	v_mad_u64_u32 v[2:3], s[16:17], s8, v38, 0
	;; [unrolled: 1-line block ×4, first 2 shown]
	v_mov_b32_e32 v1, v4
	v_lshlrev_b64 v[0:1], 2, v[0:1]
	v_mov_b32_e32 v3, v5
	v_mov_b32_e32 v6, s3
	v_lshlrev_b64 v[2:3], 2, v[2:3]
	v_add_co_u32_e32 v0, vcc, s2, v0
	v_addc_co_u32_e32 v1, vcc, v6, v1, vcc
	v_add_co_u32_e32 v0, vcc, v0, v2
	v_addc_co_u32_e32 v1, vcc, v1, v3, vcc
	global_load_dword v4, v[0:1], off
	global_load_dword v5, v37, s[6:7]
	s_mul_i32 s3, s9, 0x258
	s_mul_hi_u32 s9, s8, 0x258
	s_mul_i32 s2, s8, 0x258
	s_add_i32 s3, s9, s3
	v_mov_b32_e32 v3, s3
	v_add_co_u32_e32 v0, vcc, s2, v0
	v_addc_co_u32_e32 v1, vcc, v1, v3, vcc
	v_mov_b32_e32 v2, s7
	v_add_co_u32_e32 v3, vcc, s6, v37
	s_movk_i32 s8, 0x1000
	v_addc_co_u32_e32 v13, vcc, 0, v2, vcc
	v_add_co_u32_e32 v2, vcc, s8, v3
	v_addc_co_u32_e32 v3, vcc, 0, v13, vcc
	global_load_dword v6, v[0:1], off
	global_load_dword v7, v37, s[6:7] offset:600
	global_load_dword v8, v37, s[6:7] offset:1200
	;; [unrolled: 1-line block ×6, first 2 shown]
	v_mov_b32_e32 v13, s3
	v_add_co_u32_e32 v0, vcc, s2, v0
	v_addc_co_u32_e32 v1, vcc, v1, v13, vcc
	global_load_dword v13, v[0:1], off
	v_mov_b32_e32 v14, s3
	v_add_co_u32_e32 v0, vcc, s2, v0
	v_addc_co_u32_e32 v1, vcc, v1, v14, vcc
	global_load_dword v14, v[0:1], off
	global_load_dword v15, v[2:3], off offset:104
	v_mov_b32_e32 v17, s3
	v_add_co_u32_e32 v0, vcc, s2, v0
	v_addc_co_u32_e32 v1, vcc, v1, v17, vcc
	global_load_dword v17, v[0:1], off
	v_mov_b32_e32 v18, s3
	v_add_co_u32_e32 v0, vcc, s2, v0
	v_addc_co_u32_e32 v1, vcc, v1, v18, vcc
	global_load_dword v18, v[0:1], off
	;; [unrolled: 4-line block ×4, first 2 shown]
	v_mov_b32_e32 v21, s3
	v_add_co_u32_e32 v0, vcc, s2, v0
	v_addc_co_u32_e32 v1, vcc, v1, v21, vcc
	v_mov_b32_e32 v22, s3
	global_load_dword v21, v[0:1], off
	v_add_co_u32_e32 v0, vcc, s2, v0
	v_addc_co_u32_e32 v1, vcc, v1, v22, vcc
	global_load_dword v22, v[2:3], off offset:704
	v_mov_b32_e32 v27, s3
	v_mov_b32_e32 v32, s3
	s_waitcnt vmcnt(17)
	v_lshrrev_b32_e32 v23, 16, v4
	s_waitcnt vmcnt(16)
	v_mul_f16_sdwa v24, v5, v4 dst_sel:DWORD dst_unused:UNUSED_PAD src0_sel:WORD_1 src1_sel:DWORD
	v_mul_f16_sdwa v25, v5, v23 dst_sel:DWORD dst_unused:UNUSED_PAD src0_sel:WORD_1 src1_sel:DWORD
	v_fma_f16 v23, v5, v23, -v24
	global_load_dword v24, v[0:1], off
	global_load_dword v26, v[2:3], off offset:1304
	v_add_co_u32_e32 v0, vcc, s2, v0
	v_addc_co_u32_e32 v1, vcc, v1, v27, vcc
	global_load_dword v28, v[0:1], off
	global_load_dword v29, v[2:3], off offset:1904
	v_add_co_u32_e32 v0, vcc, s2, v0
	v_addc_co_u32_e32 v1, vcc, v1, v27, vcc
	global_load_dword v27, v[0:1], off
	global_load_dword v30, v[2:3], off offset:2504
	v_add_co_u32_e32 v0, vcc, s2, v0
	v_addc_co_u32_e32 v1, vcc, v1, v32, vcc
	global_load_dword v32, v[0:1], off
	global_load_dword v33, v[2:3], off offset:3104
	s_waitcnt vmcnt(23)
	v_lshrrev_b32_e32 v31, 16, v6
	s_waitcnt vmcnt(22)
	v_mul_f16_sdwa v1, v7, v6 dst_sel:DWORD dst_unused:UNUSED_PAD src0_sel:WORD_1 src1_sel:DWORD
	v_mul_f16_sdwa v2, v7, v31 dst_sel:DWORD dst_unused:UNUSED_PAD src0_sel:WORD_1 src1_sel:DWORD
	v_fma_f16 v0, v5, v4, v25
	v_fma_f16 v1, v7, v31, -v1
	v_fma_f16 v2, v7, v6, v2
	v_pack_b32_f16 v0, v0, v23
	v_pack_b32_f16 v1, v2, v1
	ds_write2_b32 v37, v0, v1 offset1:150
	s_waitcnt vmcnt(16)
	v_lshrrev_b32_e32 v0, 16, v13
	v_mul_f16_sdwa v1, v8, v0 dst_sel:DWORD dst_unused:UNUSED_PAD src0_sel:WORD_1 src1_sel:DWORD
	v_mul_f16_sdwa v2, v8, v13 dst_sel:DWORD dst_unused:UNUSED_PAD src0_sel:WORD_1 src1_sel:DWORD
	v_fma_f16 v1, v8, v13, v1
	v_fma_f16 v0, v8, v0, -v2
	v_pack_b32_f16 v0, v1, v0
	s_waitcnt vmcnt(15)
	v_lshrrev_b32_e32 v1, 16, v14
	v_mul_f16_sdwa v2, v9, v1 dst_sel:DWORD dst_unused:UNUSED_PAD src0_sel:WORD_1 src1_sel:DWORD
	v_mul_f16_sdwa v3, v9, v14 dst_sel:DWORD dst_unused:UNUSED_PAD src0_sel:WORD_1 src1_sel:DWORD
	v_fma_f16 v2, v9, v14, v2
	v_fma_f16 v1, v9, v1, -v3
	v_pack_b32_f16 v1, v2, v1
	v_add_u32_e32 v2, 0x400, v37
	ds_write2_b32 v2, v0, v1 offset0:44 offset1:194
	s_waitcnt vmcnt(13)
	v_lshrrev_b32_e32 v0, 16, v17
	v_mul_f16_sdwa v1, v10, v0 dst_sel:DWORD dst_unused:UNUSED_PAD src0_sel:WORD_1 src1_sel:DWORD
	v_mul_f16_sdwa v2, v10, v17 dst_sel:DWORD dst_unused:UNUSED_PAD src0_sel:WORD_1 src1_sel:DWORD
	v_fma_f16 v1, v10, v17, v1
	v_fma_f16 v0, v10, v0, -v2
	v_pack_b32_f16 v0, v1, v0
	s_waitcnt vmcnt(12)
	v_lshrrev_b32_e32 v1, 16, v18
	v_mul_f16_sdwa v2, v11, v1 dst_sel:DWORD dst_unused:UNUSED_PAD src0_sel:WORD_1 src1_sel:DWORD
	v_mul_f16_sdwa v3, v11, v18 dst_sel:DWORD dst_unused:UNUSED_PAD src0_sel:WORD_1 src1_sel:DWORD
	v_fma_f16 v2, v11, v18, v2
	v_fma_f16 v1, v11, v1, -v3
	v_pack_b32_f16 v1, v2, v1
	v_add_u32_e32 v2, 0x800, v37
	ds_write2_b32 v2, v0, v1 offset0:88 offset1:238
	s_waitcnt vmcnt(11)
	v_lshrrev_b32_e32 v0, 16, v19
	v_mul_f16_sdwa v1, v12, v0 dst_sel:DWORD dst_unused:UNUSED_PAD src0_sel:WORD_1 src1_sel:DWORD
	v_mul_f16_sdwa v2, v12, v19 dst_sel:DWORD dst_unused:UNUSED_PAD src0_sel:WORD_1 src1_sel:DWORD
	v_fma_f16 v1, v12, v19, v1
	v_fma_f16 v0, v12, v0, -v2
	v_pack_b32_f16 v0, v1, v0
	s_waitcnt vmcnt(10)
	v_lshrrev_b32_e32 v1, 16, v20
	v_mul_f16_sdwa v2, v15, v1 dst_sel:DWORD dst_unused:UNUSED_PAD src0_sel:WORD_1 src1_sel:DWORD
	v_mul_f16_sdwa v3, v15, v20 dst_sel:DWORD dst_unused:UNUSED_PAD src0_sel:WORD_1 src1_sel:DWORD
	v_fma_f16 v2, v15, v20, v2
	v_fma_f16 v1, v15, v1, -v3
	v_pack_b32_f16 v1, v2, v1
	v_add_u32_e32 v2, 0xe00, v37
	ds_write2_b32 v2, v0, v1 offset0:4 offset1:154
	s_waitcnt vmcnt(9)
	v_lshrrev_b32_e32 v0, 16, v21
	s_waitcnt vmcnt(8)
	v_mul_f16_sdwa v1, v22, v0 dst_sel:DWORD dst_unused:UNUSED_PAD src0_sel:WORD_1 src1_sel:DWORD
	v_mul_f16_sdwa v2, v22, v21 dst_sel:DWORD dst_unused:UNUSED_PAD src0_sel:WORD_1 src1_sel:DWORD
	v_fma_f16 v1, v22, v21, v1
	v_fma_f16 v0, v22, v0, -v2
	v_pack_b32_f16 v0, v1, v0
	s_waitcnt vmcnt(7)
	v_lshrrev_b32_e32 v1, 16, v24
	s_waitcnt vmcnt(6)
	v_mul_f16_sdwa v2, v26, v1 dst_sel:DWORD dst_unused:UNUSED_PAD src0_sel:WORD_1 src1_sel:DWORD
	v_mul_f16_sdwa v3, v26, v24 dst_sel:DWORD dst_unused:UNUSED_PAD src0_sel:WORD_1 src1_sel:DWORD
	v_fma_f16 v2, v26, v24, v2
	v_fma_f16 v1, v26, v1, -v3
	v_pack_b32_f16 v1, v2, v1
	v_add_u32_e32 v2, 0x1200, v37
	ds_write2_b32 v2, v0, v1 offset0:48 offset1:198
	s_waitcnt vmcnt(5)
	v_lshrrev_b32_e32 v0, 16, v28
	s_waitcnt vmcnt(4)
	v_mul_f16_sdwa v1, v29, v0 dst_sel:DWORD dst_unused:UNUSED_PAD src0_sel:WORD_1 src1_sel:DWORD
	v_mul_f16_sdwa v2, v29, v28 dst_sel:DWORD dst_unused:UNUSED_PAD src0_sel:WORD_1 src1_sel:DWORD
	v_fma_f16 v1, v29, v28, v1
	v_fma_f16 v0, v29, v0, -v2
	v_pack_b32_f16 v0, v1, v0
	s_waitcnt vmcnt(3)
	v_lshrrev_b32_e32 v1, 16, v27
	s_waitcnt vmcnt(2)
	v_mul_f16_sdwa v2, v30, v1 dst_sel:DWORD dst_unused:UNUSED_PAD src0_sel:WORD_1 src1_sel:DWORD
	v_mul_f16_sdwa v3, v30, v27 dst_sel:DWORD dst_unused:UNUSED_PAD src0_sel:WORD_1 src1_sel:DWORD
	v_fma_f16 v2, v30, v27, v2
	v_fma_f16 v1, v30, v1, -v3
	v_pack_b32_f16 v1, v2, v1
	v_add_u32_e32 v2, 0x1600, v37
	ds_write2_b32 v2, v0, v1 offset0:92 offset1:242
	s_waitcnt vmcnt(1)
	v_lshrrev_b32_e32 v0, 16, v32
	s_waitcnt vmcnt(0)
	v_mul_f16_sdwa v1, v33, v0 dst_sel:DWORD dst_unused:UNUSED_PAD src0_sel:WORD_1 src1_sel:DWORD
	v_mul_f16_sdwa v2, v33, v32 dst_sel:DWORD dst_unused:UNUSED_PAD src0_sel:WORD_1 src1_sel:DWORD
	v_fma_f16 v1, v33, v32, v1
	v_fma_f16 v0, v33, v0, -v2
	v_pack_b32_f16 v0, v1, v0
	ds_write_b32 v37, v0 offset:7200
.LBB0_3:
	s_or_b64 exec, exec, s[14:15]
	s_load_dwordx2 s[2:3], s[4:5], 0x20
	s_load_dwordx2 s[14:15], s[4:5], 0x8
	v_mov_b32_e32 v0, 0
	s_waitcnt lgkmcnt(0)
	s_barrier
	s_waitcnt lgkmcnt(0)
                                        ; implicit-def: $vgpr12
                                        ; implicit-def: $vgpr11
                                        ; implicit-def: $vgpr9
                                        ; implicit-def: $vgpr7
                                        ; implicit-def: $vgpr5
                                        ; implicit-def: $vgpr3
	s_and_saveexec_b64 s[4:5], s[0:1]
	s_cbranch_execz .LBB0_5
; %bb.4:
	v_add_u32_e32 v2, 0x400, v37
	v_add_u32_e32 v4, 0x800, v37
	;; [unrolled: 1-line block ×5, first 2 shown]
	ds_read2_b32 v[0:1], v37 offset1:150
	ds_read2_b32 v[2:3], v2 offset0:44 offset1:194
	ds_read2_b32 v[4:5], v4 offset0:88 offset1:238
	;; [unrolled: 1-line block ×5, first 2 shown]
	ds_read_b32 v12, v37 offset:7200
.LBB0_5:
	s_or_b64 exec, exec, s[4:5]
	s_waitcnt lgkmcnt(0)
	v_pk_add_f16 v13, v1, v12 neg_lo:[0,1] neg_hi:[0,1]
	s_mov_b32 s4, 0xb770
	v_pk_add_f16 v14, v12, v1
	s_movk_i32 s8, 0x3b15
	v_mul_f16_sdwa v26, v13, s4 dst_sel:DWORD dst_unused:UNUSED_PAD src0_sel:WORD_1 src1_sel:DWORD
	v_fma_f16 v15, v14, s8, v26
	v_lshrrev_b32_e32 v21, 16, v14
	s_movk_i32 s9, 0x388b
	v_mul_f16_e32 v31, 0xba95, v13
	v_add_f16_e32 v18, v15, v0
	v_fma_f16 v15, v21, s9, -v31
	s_mov_b32 s24, 0xba95
	v_add_f16_sdwa v19, v15, v0 dst_sel:DWORD dst_unused:UNUSED_PAD src0_sel:DWORD src1_sel:WORD_1
	v_pk_add_f16 v15, v2, v11 neg_lo:[0,1] neg_hi:[0,1]
	v_pk_add_f16 v17, v11, v2
	v_mul_f16_sdwa v30, v15, s24 dst_sel:DWORD dst_unused:UNUSED_PAD src0_sel:WORD_1 src1_sel:DWORD
	s_mov_b32 s23, 0xbbf1
	v_fma_f16 v20, v17, s9, v30
	v_lshrrev_b32_e32 v24, 16, v17
	s_mov_b32 s11, 0xb5ac
	v_mul_f16_e32 v43, 0xbb7b, v15
	s_movk_i32 s10, 0x2fb7
	v_mul_f16_sdwa v45, v13, s23 dst_sel:DWORD dst_unused:UNUSED_PAD src0_sel:WORD_1 src1_sel:DWORD
	v_add_f16_e32 v20, v20, v18
	v_fma_f16 v18, v24, s11, -v43
	s_mov_b32 s16, 0xb3a8
	v_add_f16_e32 v22, v18, v19
	v_fma_f16 v18, v14, s10, v45
	s_mov_b32 s17, 0xbbc4
	v_mul_f16_sdwa v48, v15, s16 dst_sel:DWORD dst_unused:UNUSED_PAD src0_sel:WORD_1 src1_sel:DWORD
	v_add_f16_e32 v18, v18, v0
	v_fma_f16 v19, v17, s17, v48
	v_mul_f16_e32 v53, 0xbbf1, v13
	v_add_f16_e32 v23, v19, v18
	v_fma_f16 v18, v21, s10, -v53
	v_mul_f16_e32 v54, 0xb3a8, v15
	v_add_f16_sdwa v18, v18, v0 dst_sel:DWORD dst_unused:UNUSED_PAD src0_sel:DWORD src1_sel:WORD_1
	v_fma_f16 v19, v24, s17, -v54
	v_add_f16_e32 v25, v19, v18
	v_pk_add_f16 v18, v3, v10 neg_lo:[0,1] neg_hi:[0,1]
	v_pk_add_f16 v19, v10, v3
	v_mul_f16_sdwa v39, v18, s23 dst_sel:DWORD dst_unused:UNUSED_PAD src0_sel:WORD_1 src1_sel:DWORD
	v_fma_f16 v27, v19, s10, v39
	v_lshrrev_b32_e32 v28, 16, v19
	v_mul_f16_e32 v47, 0xb3a8, v18
	s_movk_i32 s4, 0x3b7b
	v_add_f16_e32 v27, v27, v20
	v_fma_f16 v20, v28, s17, -v47
	v_mul_f16_sdwa v52, v18, s4 dst_sel:DWORD dst_unused:UNUSED_PAD src0_sel:WORD_1 src1_sel:DWORD
	v_add_f16_e32 v29, v20, v22
	v_fma_f16 v20, v19, s11, v52
	v_mul_f16_e32 v57, 0x3b7b, v18
	v_add_f16_e32 v23, v20, v23
	v_fma_f16 v20, v28, s11, -v57
	v_add_f16_e32 v25, v20, v25
	s_mov_b32 s18, 0xbb7b
	v_pk_add_f16 v20, v4, v9 neg_lo:[0,1] neg_hi:[0,1]
	v_pk_add_f16 v22, v9, v4
	v_mul_f16_sdwa v46, v20, s18 dst_sel:DWORD dst_unused:UNUSED_PAD src0_sel:WORD_1 src1_sel:DWORD
	v_fma_f16 v32, v22, s11, v46
	s_mov_b32 s20, 0xb9fd
	v_lshrrev_b32_e32 v36, 16, v22
	v_mul_f16_e32 v51, 0x394e, v20
	s_movk_i32 s19, 0x3770
	v_add_f16_e32 v27, v32, v27
	v_fma_f16 v32, v36, s20, -v51
	v_mul_f16_sdwa v58, v20, s19 dst_sel:DWORD dst_unused:UNUSED_PAD src0_sel:WORD_1 src1_sel:DWORD
	v_add_f16_e32 v29, v32, v29
	v_fma_f16 v32, v22, s8, v58
	v_mul_f16_e32 v60, 0x3770, v20
	v_add_f16_e32 v32, v32, v23
	v_fma_f16 v23, v36, s8, -v60
	v_add_f16_e32 v33, v23, v25
	s_mov_b32 s21, 0xb94e
	v_pk_add_f16 v23, v5, v8 neg_lo:[0,1] neg_hi:[0,1]
	v_pk_add_f16 v25, v8, v5
	v_mul_f16_sdwa v50, v23, s21 dst_sel:DWORD dst_unused:UNUSED_PAD src0_sel:WORD_1 src1_sel:DWORD
	v_fma_f16 v34, v25, s20, v50
	v_lshrrev_b32_e32 v44, 16, v25
	v_mul_f16_e32 v56, 0x3bf1, v23
	v_add_f16_e32 v34, v34, v27
	v_fma_f16 v27, v44, s10, -v56
	v_mul_f16_sdwa v59, v23, s24 dst_sel:DWORD dst_unused:UNUSED_PAD src0_sel:WORD_1 src1_sel:DWORD
	v_add_f16_e32 v35, v27, v29
	v_fma_f16 v27, v25, s9, v59
	v_mul_f16_e32 v66, 0xba95, v23
	v_add_f16_e32 v32, v27, v32
	v_fma_f16 v27, v44, s9, -v66
	v_add_f16_e32 v40, v27, v33
	v_pk_add_f16 v27, v6, v7 neg_lo:[0,1] neg_hi:[0,1]
	v_pk_add_f16 v29, v7, v6
	v_mul_f16_sdwa v55, v27, s16 dst_sel:DWORD dst_unused:UNUSED_PAD src0_sel:WORD_1 src1_sel:DWORD
	v_fma_f16 v33, v29, s17, v55
	v_lshrrev_b32_e32 v49, 16, v29
	v_mul_f16_e32 v61, 0x3770, v27
	v_add_f16_e32 v41, v33, v34
	v_fma_f16 v33, v49, s8, -v61
	s_mov_b32 s4, 0x3b15388b
	v_add_f16_e32 v33, v33, v35
	s_mov_b32 s5, 0xba95b770
	v_pk_mul_f16 v35, v14, s4
	s_mov_b32 s4, 0x388bb5ac
	v_pk_fma_f16 v62, v13, s5, v35 op_sel:[0,0,1] op_sel_hi:[1,1,0] neg_lo:[1,0,0] neg_hi:[1,0,0]
	v_pk_fma_f16 v63, v13, s5, v35 op_sel:[0,0,1] op_sel_hi:[1,1,0]
	s_mov_b32 s5, 0xbb7bba95
	v_pk_mul_f16 v35, v17, s4
	s_mov_b32 s4, 0x2fb7bbc4
	v_pk_fma_f16 v64, v15, s5, v35 op_sel:[0,0,1] op_sel_hi:[1,1,0] neg_lo:[1,0,0] neg_hi:[1,0,0]
	v_pk_fma_f16 v65, v15, s5, v35 op_sel:[0,0,1] op_sel_hi:[1,1,0]
	;; [unrolled: 5-line block ×4, first 2 shown]
	s_mov_b32 s5, 0x3bf1b94e
	v_pk_mul_f16 v35, v25, s4
	v_mul_f16_sdwa v69, v27, s21 dst_sel:DWORD dst_unused:UNUSED_PAD src0_sel:WORD_1 src1_sel:DWORD
	v_pk_fma_f16 v72, v23, s5, v35 op_sel:[0,0,1] op_sel_hi:[1,1,0] neg_lo:[1,0,0] neg_hi:[1,0,0]
	v_pk_fma_f16 v73, v23, s5, v35 op_sel:[0,0,1] op_sel_hi:[1,1,0]
	v_add_f16_sdwa v35, v62, v0 dst_sel:DWORD dst_unused:UNUSED_PAD src0_sel:DWORD src1_sel:WORD_1
	v_fma_f16 v34, v29, s20, v69
	v_mul_f16_e32 v76, 0xb94e, v27
	v_add_f16_e32 v35, v64, v35
	v_add_f16_e32 v32, v34, v32
	v_fma_f16 v34, v49, s20, -v76
	s_mov_b32 s4, 0xbbc43b15
	v_add_f16_e32 v35, v67, v35
	v_add_f16_e32 v34, v34, v40
	s_mov_b32 s5, 0x3770b3a8
	v_add_f16_e32 v35, v70, v35
	v_pk_mul_f16 v40, v29, s4
	v_add_f16_e32 v35, v72, v35
	v_pk_fma_f16 v74, v27, s5, v40 op_sel:[0,0,1] op_sel_hi:[1,1,0] neg_lo:[1,0,0] neg_hi:[1,0,0]
	v_add_f16_e32 v42, v74, v35
	v_add_f16_sdwa v35, v63, v0 dst_sel:DWORD dst_unused:UNUSED_PAD src0_sel:WORD_1 src1_sel:DWORD
	v_add_f16_sdwa v35, v65, v35 dst_sel:DWORD dst_unused:UNUSED_PAD src0_sel:WORD_1 src1_sel:DWORD
	v_add_f16_sdwa v35, v68, v35 dst_sel:DWORD dst_unused:UNUSED_PAD src0_sel:WORD_1 src1_sel:DWORD
	v_add_f16_sdwa v35, v71, v35 dst_sel:DWORD dst_unused:UNUSED_PAD src0_sel:WORD_1 src1_sel:DWORD
	v_pk_fma_f16 v75, v27, s5, v40 op_sel:[0,0,1] op_sel_hi:[1,1,0]
	v_add_f16_sdwa v35, v73, v35 dst_sel:DWORD dst_unused:UNUSED_PAD src0_sel:WORD_1 src1_sel:DWORD
	s_movk_i32 s25, 0x394e
	s_movk_i32 s22, 0x3bf1
	v_add_f16_sdwa v35, v75, v35 dst_sel:DWORD dst_unused:UNUSED_PAD src0_sel:WORD_1 src1_sel:DWORD
	v_mul_lo_u16_e32 v40, 13, v38
	s_barrier
	s_and_saveexec_b64 s[4:5], s[0:1]
	s_cbranch_execz .LBB0_7
; %bb.6:
	v_mul_f16_e32 v77, 0xb94e, v13
	v_fma_f16 v78, v21, s20, v77
	v_mul_f16_e32 v79, 0x3bf1, v15
	v_add_f16_sdwa v78, v78, v0 dst_sel:DWORD dst_unused:UNUSED_PAD src0_sel:DWORD src1_sel:WORD_1
	v_fma_f16 v80, v24, s10, v79
	v_add_f16_e32 v78, v80, v78
	v_mul_f16_e32 v80, 0xba95, v18
	v_fma_f16 v81, v28, s9, v80
	v_add_f16_e32 v78, v81, v78
	v_mul_f16_e32 v81, 0x33a8, v20
	;; [unrolled: 3-line block ×4, first 2 shown]
	v_fma_f16 v84, v49, s11, v83
	v_add_f16_e32 v78, v84, v78
	v_mul_f16_sdwa v84, v13, s21 dst_sel:DWORD dst_unused:UNUSED_PAD src0_sel:WORD_1 src1_sel:DWORD
	v_fma_f16 v85, v14, s20, -v84
	v_mul_f16_sdwa v86, v15, s22 dst_sel:DWORD dst_unused:UNUSED_PAD src0_sel:WORD_1 src1_sel:DWORD
	v_add_f16_e32 v85, v85, v0
	v_fma_f16 v87, v17, s10, -v86
	v_add_f16_e32 v85, v87, v85
	v_mul_f16_sdwa v87, v18, s24 dst_sel:DWORD dst_unused:UNUSED_PAD src0_sel:WORD_1 src1_sel:DWORD
	v_fma_f16 v88, v19, s9, -v87
	s_movk_i32 s24, 0x33a8
	v_add_f16_e32 v85, v88, v85
	v_mul_f16_sdwa v88, v20, s24 dst_sel:DWORD dst_unused:UNUSED_PAD src0_sel:WORD_1 src1_sel:DWORD
	v_fma_f16 v89, v22, s17, -v88
	v_add_f16_e32 v85, v89, v85
	v_mul_f16_sdwa v89, v23, s19 dst_sel:DWORD dst_unused:UNUSED_PAD src0_sel:WORD_1 src1_sel:DWORD
	v_fma_f16 v90, v25, s8, -v89
	;; [unrolled: 3-line block ×3, first 2 shown]
	v_add_f16_e32 v85, v91, v85
	v_mul_f16_e32 v91, 0xbb7b, v13
	v_fma_f16 v92, v21, s11, v91
	v_mul_f16_e32 v93, 0x394e, v15
	v_add_f16_sdwa v92, v92, v0 dst_sel:DWORD dst_unused:UNUSED_PAD src0_sel:DWORD src1_sel:WORD_1
	v_fma_f16 v94, v24, s20, v93
	v_add_f16_e32 v92, v94, v92
	v_mul_f16_e32 v94, 0x3770, v18
	v_fma_f16 v95, v28, s8, v94
	v_add_f16_e32 v92, v95, v92
	v_mul_f16_e32 v95, 0xbbf1, v20
	v_fma_f16 v96, v36, s10, v95
	v_add_f16_e32 v92, v96, v92
	v_mul_f16_e32 v96, 0x33a8, v23
	v_fma_f16 v97, v44, s17, v96
	v_add_f16_e32 v92, v97, v92
	v_mul_f16_e32 v97, 0x3a95, v27
	v_fma_f16 v98, v49, s9, v97
	v_add_f16_e32 v92, v98, v92
	v_mul_f16_sdwa v98, v13, s18 dst_sel:DWORD dst_unused:UNUSED_PAD src0_sel:WORD_1 src1_sel:DWORD
	v_fma_f16 v99, v14, s11, -v98
	v_mul_f16_sdwa v100, v15, s25 dst_sel:DWORD dst_unused:UNUSED_PAD src0_sel:WORD_1 src1_sel:DWORD
	v_add_f16_e32 v99, v99, v0
	v_fma_f16 v101, v17, s20, -v100
	v_add_f16_e32 v99, v101, v99
	v_mul_f16_sdwa v101, v18, s19 dst_sel:DWORD dst_unused:UNUSED_PAD src0_sel:WORD_1 src1_sel:DWORD
	v_fma_f16 v102, v19, s8, -v101
	v_add_f16_e32 v99, v102, v99
	v_mul_f16_sdwa v102, v20, s23 dst_sel:DWORD dst_unused:UNUSED_PAD src0_sel:WORD_1 src1_sel:DWORD
	;; [unrolled: 3-line block ×3, first 2 shown]
	v_fma_f16 v104, v25, s17, -v103
	s_movk_i32 s23, 0x3a95
	v_add_f16_e32 v99, v104, v99
	v_mul_f16_sdwa v104, v27, s23 dst_sel:DWORD dst_unused:UNUSED_PAD src0_sel:WORD_1 src1_sel:DWORD
	v_fma_f16 v105, v29, s9, -v104
	v_add_f16_e32 v99, v105, v99
	v_mul_f16_e32 v105, 0x2fb7, v21
	v_add_f16_e32 v53, v53, v105
	v_mul_f16_e32 v105, 0xbbc4, v24
	v_add_f16_e32 v54, v54, v105
	v_add_f16_sdwa v53, v53, v0 dst_sel:DWORD dst_unused:UNUSED_PAD src0_sel:DWORD src1_sel:WORD_1
	v_add_f16_e32 v53, v54, v53
	v_mul_f16_e32 v54, 0xb5ac, v28
	v_add_f16_e32 v54, v57, v54
	v_add_f16_e32 v53, v54, v53
	v_mul_f16_e32 v54, 0x3b15, v36
	v_add_f16_e32 v54, v60, v54
	;; [unrolled: 3-line block ×4, first 2 shown]
	v_add_f16_e32 v53, v54, v53
	v_mul_f16_e32 v54, 0x2fb7, v14
	v_sub_f16_e32 v45, v54, v45
	v_mul_f16_e32 v54, 0xbbc4, v17
	v_sub_f16_e32 v48, v54, v48
	v_add_f16_e32 v45, v45, v0
	v_add_f16_e32 v45, v48, v45
	v_mul_f16_e32 v48, 0xb5ac, v19
	v_sub_f16_e32 v48, v48, v52
	v_add_f16_e32 v45, v48, v45
	v_mul_f16_e32 v48, 0x3b15, v22
	v_sub_f16_e32 v48, v48, v58
	;; [unrolled: 3-line block ×4, first 2 shown]
	v_add_f16_e32 v45, v48, v45
	v_mul_f16_e32 v48, 0x388b, v21
	v_add_f16_e32 v31, v31, v48
	v_mul_f16_e32 v48, 0xb5ac, v24
	v_add_f16_e32 v43, v43, v48
	v_add_f16_sdwa v31, v31, v0 dst_sel:DWORD dst_unused:UNUSED_PAD src0_sel:DWORD src1_sel:WORD_1
	v_add_f16_e32 v31, v43, v31
	v_mul_f16_e32 v43, 0xbbc4, v28
	v_add_f16_e32 v43, v47, v43
	v_add_f16_e32 v31, v43, v31
	v_mul_f16_e32 v43, 0xb9fd, v36
	v_add_f16_e32 v43, v51, v43
	;; [unrolled: 3-line block ×3, first 2 shown]
	v_mul_f16_e32 v56, 0x3b15, v14
	v_sub_f16_e32 v26, v56, v26
	v_mul_f16_e32 v56, 0x388b, v17
	v_sub_f16_e32 v30, v56, v30
	v_add_f16_e32 v26, v26, v0
	v_add_f16_e32 v26, v30, v26
	v_mul_f16_e32 v30, 0x2fb7, v19
	v_sub_f16_e32 v30, v30, v39
	v_add_f16_e32 v26, v30, v26
	v_mul_f16_e32 v30, 0xb5ac, v22
	v_sub_f16_e32 v30, v30, v46
	;; [unrolled: 3-line block ×3, first 2 shown]
	v_mul_f16_e32 v46, 0xbbc4, v29
	v_add_f16_e32 v26, v30, v26
	v_sub_f16_e32 v30, v46, v55
	v_add_f16_e32 v26, v30, v26
	v_fma_f16 v30, v21, s20, -v77
	v_fma_f16 v21, v21, s11, -v91
	v_add_f16_sdwa v30, v30, v0 dst_sel:DWORD dst_unused:UNUSED_PAD src0_sel:DWORD src1_sel:WORD_1
	v_fma_f16 v46, v24, s10, -v79
	v_add_f16_sdwa v21, v21, v0 dst_sel:DWORD dst_unused:UNUSED_PAD src0_sel:DWORD src1_sel:WORD_1
	v_fma_f16 v24, v24, s20, -v93
	v_alignbit_b32 v39, v0, v0, 16
	v_add_f16_e32 v30, v46, v30
	v_fma_f16 v46, v28, s9, -v80
	v_add_f16_e32 v21, v24, v21
	v_fma_f16 v24, v28, s8, -v94
	v_add_f16_e32 v31, v43, v31
	v_mul_f16_e32 v43, 0x3b15, v49
	v_pk_add_f16 v1, v1, v39 op_sel:[0,1] op_sel_hi:[1,0]
	v_add_f16_e32 v30, v46, v30
	v_fma_f16 v46, v36, s17, -v81
	v_add_f16_e32 v21, v24, v21
	v_fma_f16 v24, v36, s10, -v95
	v_add_f16_e32 v43, v61, v43
	s_mov_b32 s24, 0xffff
	v_add_f16_e32 v30, v46, v30
	v_fma_f16 v46, v44, s8, -v82
	v_add_f16_e32 v21, v24, v21
	v_fma_f16 v24, v44, s17, -v96
	v_pk_add_f16 v1, v2, v1
	v_add_f16_e32 v31, v43, v31
	v_bfi_b32 v43, s24, v63, v62
	v_add_f16_e32 v30, v46, v30
	v_fma_f16 v46, v49, s11, -v83
	v_add_f16_e32 v21, v24, v21
	v_fma_f16 v24, v49, s9, -v97
	v_pk_add_f16 v1, v3, v1
	v_bfi_b32 v47, s24, v65, v64
	v_add_f16_e32 v30, v46, v30
	v_fma_f16 v46, v14, s20, v84
	v_add_f16_e32 v21, v24, v21
	v_fma_f16 v24, v14, s11, v98
	v_pk_add_f16 v1, v4, v1
	v_pk_add_f16 v2, v43, v39
	v_bfi_b32 v48, s24, v68, v67
	v_add_f16_e32 v46, v46, v0
	v_add_f16_e32 v0, v24, v0
	v_fma_f16 v24, v17, s20, v100
	v_pk_add_f16 v1, v5, v1
	v_pk_add_f16 v2, v47, v2
	v_bfi_b32 v51, s24, v71, v70
	v_add_f16_e32 v0, v24, v0
	v_fma_f16 v24, v19, s8, v101
	v_pk_add_f16 v1, v6, v1
	v_pk_add_f16 v2, v48, v2
	v_bfi_b32 v52, s24, v73, v72
	;; [unrolled: 5-line block ×3, first 2 shown]
	v_add_f16_e32 v0, v24, v0
	v_fma_f16 v24, v25, s17, v103
	v_pk_add_f16 v1, v8, v1
	v_pk_add_f16 v2, v52, v2
	v_add_f16_e32 v0, v24, v0
	v_fma_f16 v24, v29, s9, v104
	v_pk_add_f16 v1, v9, v1
	v_pk_add_f16 v2, v54, v2
	v_add_f16_e32 v0, v24, v0
	v_lshlrev_b32_e32 v24, 2, v40
	v_pk_add_f16 v1, v10, v1
	v_alignbit_b32 v3, v31, v2, 16
	v_pack_b32_f16 v2, v26, v2
	v_pk_add_f16 v1, v11, v1
	ds_write2_b32 v24, v2, v3 offset0:1 offset1:2
	v_pack_b32_f16 v2, v45, v53
	v_pack_b32_f16 v3, v99, v92
	v_pk_add_f16 v1, v12, v1
	ds_write2_b32 v24, v2, v3 offset0:3 offset1:4
	v_pack_b32_f16 v2, v85, v78
	ds_write2_b32 v24, v1, v2 offset1:5
	v_pk_mul_f16 v1, v14, s17 op_sel_hi:[1,0]
	v_pk_fma_f16 v2, v13, s16, v1 op_sel:[0,0,1] op_sel_hi:[1,0,0] neg_lo:[1,0,0] neg_hi:[1,0,0]
	v_pk_mul_f16 v3, v17, s8 op_sel_hi:[1,0]
	v_pk_add_f16 v2, v2, v39
	v_pk_fma_f16 v4, v15, s19, v3 op_sel:[0,0,1] op_sel_hi:[1,0,0] neg_lo:[1,0,0] neg_hi:[1,0,0]
	v_pk_add_f16 v2, v4, v2
	v_pk_mul_f16 v4, v19, s20 op_sel_hi:[1,0]
	v_pk_fma_f16 v5, v18, s21, v4 op_sel:[0,0,1] op_sel_hi:[1,0,0] neg_lo:[1,0,0] neg_hi:[1,0,0]
	v_pk_add_f16 v2, v5, v2
	v_pk_mul_f16 v5, v22, s9 op_sel_hi:[1,0]
	v_pk_fma_f16 v1, v13, s16, v1 op_sel:[0,0,1] op_sel_hi:[1,0,0]
	v_pk_fma_f16 v6, v20, s23, v5 op_sel:[0,0,1] op_sel_hi:[1,0,0] neg_lo:[1,0,0] neg_hi:[1,0,0]
	v_pk_add_f16 v1, v1, v39
	v_pk_fma_f16 v3, v15, s19, v3 op_sel:[0,0,1] op_sel_hi:[1,0,0]
	v_fma_f16 v50, v17, s10, v86
	v_pk_add_f16 v2, v6, v2
	v_pk_mul_f16 v6, v25, s11 op_sel_hi:[1,0]
	v_pk_add_f16 v1, v3, v1
	v_pk_fma_f16 v3, v18, s21, v4 op_sel:[0,0,1] op_sel_hi:[1,0,0]
	v_add_f16_e32 v46, v50, v46
	v_fma_f16 v50, v19, s9, v87
	v_pk_fma_f16 v7, v23, s18, v6 op_sel:[0,0,1] op_sel_hi:[1,0,0] neg_lo:[1,0,0] neg_hi:[1,0,0]
	v_pk_add_f16 v1, v3, v1
	v_pk_fma_f16 v3, v20, s23, v5 op_sel:[0,0,1] op_sel_hi:[1,0,0]
	v_add_f16_e32 v46, v50, v46
	v_fma_f16 v50, v22, s17, v88
	v_pk_add_f16 v2, v7, v2
	v_pk_mul_f16 v7, v29, s10 op_sel_hi:[1,0]
	v_pk_add_f16 v1, v3, v1
	v_pk_fma_f16 v3, v23, s18, v6 op_sel:[0,0,1] op_sel_hi:[1,0,0]
	v_add_f16_e32 v46, v50, v46
	v_fma_f16 v50, v25, s8, v89
	v_pk_fma_f16 v8, v27, s22, v7 op_sel:[0,0,1] op_sel_hi:[1,0,0] neg_lo:[1,0,0] neg_hi:[1,0,0]
	v_pk_add_f16 v1, v3, v1
	v_pk_fma_f16 v3, v27, s22, v7 op_sel:[0,0,1] op_sel_hi:[1,0,0]
	v_add_f16_e32 v46, v50, v46
	v_fma_f16 v50, v29, s11, v90
	v_pk_add_f16 v2, v8, v2
	v_pk_add_f16 v1, v3, v1
	v_add_f16_e32 v46, v50, v46
	v_alignbit_b32 v3, v2, v1, 16
	v_alignbit_b32 v1, v1, v2, 16
	ds_write2_b32 v24, v1, v3 offset0:6 offset1:7
	v_pack_b32_f16 v0, v0, v21
	v_pack_b32_f16 v1, v46, v30
	s_mov_b32 s8, 0x5040100
	ds_write2_b32 v24, v1, v0 offset0:8 offset1:9
	v_perm_b32 v0, v33, v35, s8
	v_perm_b32 v1, v34, v32, s8
	ds_write2_b32 v24, v1, v0 offset0:10 offset1:11
	v_perm_b32 v0, v42, v41, s8
	ds_write_b32 v24, v0 offset:48
.LBB0_7:
	s_or_b64 exec, exec, s[4:5]
	s_load_dwordx4 s[8:11], s[2:3], 0x0
	s_movk_i32 s2, 0x4f
	v_mul_lo_u16_sdwa v0, v38, s2 dst_sel:DWORD dst_unused:UNUSED_PAD src0_sel:BYTE_0 src1_sel:DWORD
	s_movk_i32 s2, 0xc3
	v_add_co_u32_e32 v17, vcc, s2, v38
	v_addc_co_u32_e64 v18, s[2:3], 0, 0, vcc
	s_movk_i32 s2, 0x4ec5
	v_lshrrev_b16_e32 v21, 10, v0
	v_mul_u32_u24_sdwa v4, v17, s2 dst_sel:DWORD dst_unused:UNUSED_PAD src0_sel:WORD_0 src1_sel:DWORD
	v_mul_lo_u16_e32 v0, 13, v21
	v_lshrrev_b32_e32 v23, 18, v4
	v_sub_u16_e32 v0, v38, v0
	v_mul_lo_u16_e32 v4, 13, v23
	v_and_b32_e32 v22, 0xff, v0
	v_sub_u16_e32 v24, v17, v4
	v_lshlrev_b32_e32 v0, 4, v22
	v_lshlrev_b16_e32 v4, 2, v24
	s_waitcnt lgkmcnt(0)
	s_barrier
	global_load_dwordx4 v[0:3], v0, s[14:15]
	v_lshlrev_b32_e32 v4, 2, v4
	global_load_dwordx4 v[4:7], v4, s[14:15]
	v_mov_b32_e32 v8, 2
	v_lshlrev_b32_sdwa v39, v8, v38 dst_sel:DWORD dst_unused:UNUSED_PAD src0_sel:DWORD src1_sel:WORD_0
	v_add_u32_e32 v25, 0x600, v39
	ds_read2_b32 v[8:9], v39 offset1:195
	v_add_u32_e32 v26, 0xc00, v39
	v_add_u32_e32 v27, 0x1200, v39
	;; [unrolled: 1-line block ×3, first 2 shown]
	ds_read2_b32 v[10:11], v25 offset0:6 offset1:201
	ds_read2_b32 v[12:13], v26 offset0:12 offset1:207
	;; [unrolled: 1-line block ×4, first 2 shown]
	s_movk_i32 s2, 0x3b9c
	s_waitcnt lgkmcnt(3)
	v_lshrrev_b32_e32 v31, 16, v10
	s_waitcnt lgkmcnt(2)
	v_lshrrev_b32_e32 v36, 16, v12
	;; [unrolled: 2-line block ×4, first 2 shown]
	v_lshrrev_b32_e32 v45, 16, v11
	v_lshrrev_b32_e32 v46, 16, v13
	v_lshrrev_b32_e32 v47, 16, v15
	s_mov_b32 s5, 0xbb9c
	s_movk_i32 s3, 0x38b4
	s_mov_b32 s4, 0xb8b4
	s_movk_i32 s16, 0x34f2
	v_lshrrev_b32_e32 v29, 16, v8
	v_lshrrev_b32_e32 v48, 16, v20
	v_lshrrev_b32_e32 v30, 16, v9
	s_waitcnt vmcnt(0)
	s_barrier
	s_movk_i32 s17, 0x41
	s_movk_i32 s18, 0xfd
	v_mul_f16_sdwa v50, v10, v0 dst_sel:DWORD dst_unused:UNUSED_PAD src0_sel:DWORD src1_sel:WORD_1
	v_mul_f16_sdwa v51, v36, v1 dst_sel:DWORD dst_unused:UNUSED_PAD src0_sel:DWORD src1_sel:WORD_1
	;; [unrolled: 1-line block ×8, first 2 shown]
	v_fma_f16 v31, v31, v0, v50
	v_fma_f16 v12, v12, v1, -v51
	v_fma_f16 v14, v14, v2, -v53
	v_mul_f16_sdwa v50, v11, v4 dst_sel:DWORD dst_unused:UNUSED_PAD src0_sel:DWORD src1_sel:WORD_1
	v_fma_f16 v10, v10, v0, -v49
	v_fma_f16 v43, v43, v2, v54
	v_fma_f16 v19, v19, v3, -v55
	v_fma_f16 v44, v44, v3, v56
	v_mul_f16_sdwa v49, v45, v4 dst_sel:DWORD dst_unused:UNUSED_PAD src0_sel:DWORD src1_sel:WORD_1
	v_mul_f16_sdwa v51, v46, v5 dst_sel:DWORD dst_unused:UNUSED_PAD src0_sel:DWORD src1_sel:WORD_1
	;; [unrolled: 1-line block ×4, first 2 shown]
	v_fma_f16 v45, v45, v4, v50
	v_add_f16_e32 v50, v12, v14
	v_fma_f16 v36, v36, v1, v52
	v_mul_f16_sdwa v52, v13, v5 dst_sel:DWORD dst_unused:UNUSED_PAD src0_sel:DWORD src1_sel:WORD_1
	v_fma_f16 v13, v13, v5, -v51
	v_fma_f16 v15, v15, v6, -v53
	v_fma_f16 v47, v47, v6, v54
	v_sub_f16_e32 v51, v31, v44
	v_sub_f16_e32 v53, v10, v12
	;; [unrolled: 1-line block ×3, first 2 shown]
	v_fma_f16 v50, v50, -0.5, v8
	v_fma_f16 v46, v46, v5, v52
	v_sub_f16_e32 v52, v36, v43
	v_add_f16_e32 v53, v53, v54
	v_fma_f16 v54, v51, s2, v50
	v_fma_f16 v50, v51, s5, v50
	;; [unrolled: 1-line block ×6, first 2 shown]
	v_add_f16_e32 v53, v10, v19
	v_fma_f16 v11, v11, v4, -v49
	v_add_f16_e32 v49, v8, v10
	v_fma_f16 v8, v53, -0.5, v8
	v_mul_f16_sdwa v55, v48, v7 dst_sel:DWORD dst_unused:UNUSED_PAD src0_sel:DWORD src1_sel:WORD_1
	v_mul_f16_sdwa v56, v20, v7 dst_sel:DWORD dst_unused:UNUSED_PAD src0_sel:DWORD src1_sel:WORD_1
	v_add_f16_e32 v49, v49, v12
	v_fma_f16 v53, v52, s5, v8
	v_fma_f16 v8, v52, s2, v8
	v_add_f16_e32 v52, v36, v43
	v_fma_f16 v20, v20, v7, -v55
	v_fma_f16 v48, v48, v7, v56
	v_add_f16_e32 v49, v49, v14
	v_sub_f16_e32 v55, v12, v10
	v_sub_f16_e32 v56, v14, v19
	v_fma_f16 v52, v52, -0.5, v29
	v_sub_f16_e32 v10, v10, v19
	v_add_f16_e32 v49, v49, v19
	v_fma_f16 v53, v51, s3, v53
	v_add_f16_e32 v55, v55, v56
	v_fma_f16 v8, v51, s4, v8
	v_fma_f16 v19, v10, s5, v52
	v_sub_f16_e32 v12, v12, v14
	v_fma_f16 v53, v55, s16, v53
	v_fma_f16 v8, v55, s16, v8
	;; [unrolled: 1-line block ×3, first 2 shown]
	v_sub_f16_e32 v19, v31, v36
	v_sub_f16_e32 v55, v44, v43
	v_fma_f16 v52, v10, s2, v52
	v_add_f16_e32 v19, v19, v55
	v_fma_f16 v52, v12, s3, v52
	v_fma_f16 v14, v19, s16, v14
	;; [unrolled: 1-line block ×3, first 2 shown]
	v_add_f16_e32 v52, v31, v44
	v_add_f16_e32 v51, v29, v31
	v_fma_f16 v29, v52, -0.5, v29
	v_add_f16_e32 v51, v51, v36
	v_fma_f16 v52, v12, s2, v29
	v_sub_f16_e32 v31, v36, v31
	v_sub_f16_e32 v36, v43, v44
	v_fma_f16 v12, v12, s5, v29
	v_fma_f16 v52, v10, s4, v52
	v_add_f16_e32 v31, v31, v36
	v_fma_f16 v10, v10, s3, v12
	v_add_f16_e32 v29, v13, v15
	v_add_f16_e32 v51, v51, v43
	v_fma_f16 v36, v31, s16, v52
	v_fma_f16 v10, v31, s16, v10
	v_fma_f16 v29, v29, -0.5, v9
	v_sub_f16_e32 v31, v45, v48
	v_add_f16_e32 v51, v51, v44
	v_fma_f16 v43, v31, s2, v29
	v_sub_f16_e32 v44, v46, v47
	v_sub_f16_e32 v52, v11, v13
	;; [unrolled: 1-line block ×3, first 2 shown]
	v_fma_f16 v43, v44, s3, v43
	v_add_f16_e32 v52, v52, v55
	v_fma_f16 v55, v52, s16, v43
	v_fma_f16 v29, v31, s5, v29
	v_add_f16_e32 v43, v11, v20
	v_add_f16_e32 v12, v9, v11
	v_fma_f16 v29, v44, s4, v29
	v_fma_f16 v9, v43, -0.5, v9
	v_fma_f16 v29, v52, s16, v29
	v_fma_f16 v43, v44, s5, v9
	v_sub_f16_e32 v52, v13, v11
	v_sub_f16_e32 v56, v15, v20
	v_fma_f16 v43, v31, s3, v43
	v_add_f16_e32 v52, v52, v56
	v_add_f16_e32 v12, v12, v13
	v_fma_f16 v56, v52, s16, v43
	v_add_f16_e32 v43, v46, v47
	v_add_f16_e32 v12, v12, v15
	v_fma_f16 v43, v43, -0.5, v30
	v_sub_f16_e32 v11, v11, v20
	v_add_f16_e32 v12, v12, v20
	v_fma_f16 v20, v11, s5, v43
	v_sub_f16_e32 v13, v13, v15
	v_fma_f16 v9, v44, s2, v9
	v_fma_f16 v15, v13, s4, v20
	v_sub_f16_e32 v20, v45, v46
	v_sub_f16_e32 v44, v48, v47
	v_fma_f16 v43, v11, s2, v43
	v_add_f16_e32 v20, v20, v44
	v_fma_f16 v43, v13, s3, v43
	v_fma_f16 v15, v20, s16, v15
	;; [unrolled: 1-line block ×3, first 2 shown]
	v_add_f16_e32 v43, v45, v48
	v_fma_f16 v9, v31, s4, v9
	v_add_f16_e32 v31, v30, v45
	v_fma_f16 v30, v43, -0.5, v30
	v_fma_f16 v43, v13, s2, v30
	v_sub_f16_e32 v44, v46, v45
	v_sub_f16_e32 v45, v47, v48
	v_fma_f16 v13, v13, s5, v30
	v_fma_f16 v43, v11, s4, v43
	v_add_f16_e32 v44, v44, v45
	v_fma_f16 v11, v11, s3, v13
	v_mul_u32_u24_e32 v13, 0x41, v21
	v_fma_f16 v45, v44, s16, v43
	v_add_lshl_u32 v43, v13, v22, 2
	v_pack_b32_f16 v13, v49, v51
	v_pack_b32_f16 v14, v54, v14
	v_add_f16_e32 v31, v31, v46
	ds_write2_b32 v43, v13, v14 offset1:13
	v_pack_b32_f16 v13, v53, v36
	v_pack_b32_f16 v8, v8, v10
	v_add_f16_e32 v31, v31, v47
	ds_write2_b32 v43, v13, v8 offset0:26 offset1:39
	v_pack_b32_f16 v8, v50, v19
	v_add_f16_e32 v31, v31, v48
	ds_write_b32 v43, v8 offset:208
	v_mad_legacy_u16 v8, v23, s17, v24
	v_fma_f16 v9, v52, s16, v9
	v_fma_f16 v11, v44, s16, v11
	v_lshlrev_b32_e32 v44, 2, v8
	v_pack_b32_f16 v8, v12, v31
	v_pack_b32_f16 v10, v55, v15
	ds_write2_b32 v44, v8, v10 offset1:13
	v_pack_b32_f16 v8, v56, v45
	v_pack_b32_f16 v9, v9, v11
	ds_write2_b32 v44, v8, v9 offset0:26 offset1:39
	v_pack_b32_f16 v8, v29, v20
	ds_write_b32 v44, v8 offset:208
	v_mul_lo_u16_sdwa v8, v38, s18 dst_sel:DWORD dst_unused:UNUSED_PAD src0_sel:BYTE_0 src1_sel:DWORD
	v_lshrrev_b16_e32 v29, 14, v8
	v_mul_lo_u16_e32 v8, 0x41, v29
	v_sub_u16_e32 v8, v38, v8
	v_and_b32_e32 v30, 0xff, v8
	v_mad_u64_u32 v[19:20], s[18:19], v30, 36, s[14:15]
	s_waitcnt lgkmcnt(0)
	s_barrier
	global_load_dwordx4 v[8:11], v[19:20], off offset:208
	global_load_dwordx4 v[12:15], v[19:20], off offset:224
	global_load_dword v45, v[19:20], off offset:240
	ds_read2_b32 v[19:20], v39 offset1:195
	ds_read2_b32 v[21:22], v25 offset0:6 offset1:201
	ds_read2_b32 v[23:24], v26 offset0:12 offset1:207
	;; [unrolled: 1-line block ×4, first 2 shown]
	s_waitcnt lgkmcnt(4)
	v_lshrrev_b32_e32 v36, 16, v20
	s_waitcnt lgkmcnt(3)
	v_lshrrev_b32_e32 v46, 16, v21
	v_lshrrev_b32_e32 v47, 16, v22
	s_waitcnt lgkmcnt(2)
	v_lshrrev_b32_e32 v48, 16, v23
	;; [unrolled: 3-line block ×4, first 2 shown]
	v_lshrrev_b32_e32 v53, 16, v28
	v_lshrrev_b32_e32 v31, 16, v19
	s_movk_i32 s18, 0x3a79
	s_waitcnt vmcnt(0)
	s_barrier
	v_mul_f16_sdwa v54, v36, v8 dst_sel:DWORD dst_unused:UNUSED_PAD src0_sel:DWORD src1_sel:WORD_1
	v_fma_f16 v54, v20, v8, -v54
	v_mul_f16_sdwa v20, v20, v8 dst_sel:DWORD dst_unused:UNUSED_PAD src0_sel:DWORD src1_sel:WORD_1
	v_fma_f16 v20, v36, v8, v20
	v_mul_f16_sdwa v36, v46, v9 dst_sel:DWORD dst_unused:UNUSED_PAD src0_sel:DWORD src1_sel:WORD_1
	v_fma_f16 v36, v21, v9, -v36
	v_mul_f16_sdwa v21, v21, v9 dst_sel:DWORD dst_unused:UNUSED_PAD src0_sel:DWORD src1_sel:WORD_1
	v_fma_f16 v21, v46, v9, v21
	v_mul_f16_sdwa v46, v47, v10 dst_sel:DWORD dst_unused:UNUSED_PAD src0_sel:DWORD src1_sel:WORD_1
	v_fma_f16 v46, v22, v10, -v46
	v_mul_f16_sdwa v22, v22, v10 dst_sel:DWORD dst_unused:UNUSED_PAD src0_sel:DWORD src1_sel:WORD_1
	v_fma_f16 v22, v47, v10, v22
	v_mul_f16_sdwa v47, v48, v11 dst_sel:DWORD dst_unused:UNUSED_PAD src0_sel:DWORD src1_sel:WORD_1
	v_fma_f16 v47, v23, v11, -v47
	v_mul_f16_sdwa v23, v23, v11 dst_sel:DWORD dst_unused:UNUSED_PAD src0_sel:DWORD src1_sel:WORD_1
	v_fma_f16 v23, v48, v11, v23
	v_mul_f16_sdwa v48, v49, v12 dst_sel:DWORD dst_unused:UNUSED_PAD src0_sel:DWORD src1_sel:WORD_1
	v_fma_f16 v48, v24, v12, -v48
	v_mul_f16_sdwa v24, v24, v12 dst_sel:DWORD dst_unused:UNUSED_PAD src0_sel:DWORD src1_sel:WORD_1
	v_fma_f16 v24, v49, v12, v24
	v_mul_f16_sdwa v49, v50, v13 dst_sel:DWORD dst_unused:UNUSED_PAD src0_sel:DWORD src1_sel:WORD_1
	v_fma_f16 v49, v25, v13, -v49
	v_mul_f16_sdwa v25, v25, v13 dst_sel:DWORD dst_unused:UNUSED_PAD src0_sel:DWORD src1_sel:WORD_1
	v_fma_f16 v25, v50, v13, v25
	v_mul_f16_sdwa v50, v51, v14 dst_sel:DWORD dst_unused:UNUSED_PAD src0_sel:DWORD src1_sel:WORD_1
	v_fma_f16 v50, v26, v14, -v50
	v_mul_f16_sdwa v26, v26, v14 dst_sel:DWORD dst_unused:UNUSED_PAD src0_sel:DWORD src1_sel:WORD_1
	v_fma_f16 v26, v51, v14, v26
	v_mul_f16_sdwa v51, v52, v15 dst_sel:DWORD dst_unused:UNUSED_PAD src0_sel:DWORD src1_sel:WORD_1
	v_fma_f16 v51, v27, v15, -v51
	v_mul_f16_sdwa v27, v27, v15 dst_sel:DWORD dst_unused:UNUSED_PAD src0_sel:DWORD src1_sel:WORD_1
	v_fma_f16 v27, v52, v15, v27
	v_add_f16_e32 v55, v47, v49
	v_fma_f16 v55, v55, -0.5, v19
	v_sub_f16_e32 v56, v21, v27
	v_fma_f16 v57, v56, s2, v55
	v_sub_f16_e32 v58, v23, v25
	v_sub_f16_e32 v59, v36, v47
	;; [unrolled: 1-line block ×3, first 2 shown]
	v_fma_f16 v55, v56, s5, v55
	v_mul_f16_sdwa v52, v53, v45 dst_sel:DWORD dst_unused:UNUSED_PAD src0_sel:DWORD src1_sel:WORD_1
	v_fma_f16 v57, v58, s3, v57
	v_add_f16_e32 v59, v59, v60
	v_fma_f16 v55, v58, s4, v55
	v_fma_f16 v52, v28, v45, -v52
	v_mul_f16_sdwa v28, v28, v45 dst_sel:DWORD dst_unused:UNUSED_PAD src0_sel:DWORD src1_sel:WORD_1
	v_fma_f16 v57, v59, s16, v57
	v_fma_f16 v55, v59, s16, v55
	v_add_f16_e32 v59, v36, v51
	v_fma_f16 v28, v53, v45, v28
	v_add_f16_e32 v53, v19, v36
	v_fma_f16 v19, v59, -0.5, v19
	v_add_f16_e32 v53, v53, v47
	v_fma_f16 v59, v58, s5, v19
	v_fma_f16 v19, v58, s2, v19
	v_add_f16_e32 v58, v23, v25
	v_add_f16_e32 v53, v53, v49
	v_sub_f16_e32 v60, v47, v36
	v_sub_f16_e32 v61, v49, v51
	v_fma_f16 v58, v58, -0.5, v31
	v_sub_f16_e32 v36, v36, v51
	v_add_f16_e32 v53, v53, v51
	v_fma_f16 v59, v56, s3, v59
	v_add_f16_e32 v60, v60, v61
	v_fma_f16 v19, v56, s4, v19
	v_fma_f16 v51, v36, s5, v58
	v_sub_f16_e32 v47, v47, v49
	v_fma_f16 v59, v60, s16, v59
	v_fma_f16 v19, v60, s16, v19
	;; [unrolled: 1-line block ×3, first 2 shown]
	v_sub_f16_e32 v51, v21, v23
	v_sub_f16_e32 v60, v27, v25
	v_fma_f16 v58, v36, s2, v58
	v_add_f16_e32 v56, v31, v21
	v_add_f16_e32 v51, v51, v60
	v_fma_f16 v58, v47, s3, v58
	v_add_f16_e32 v56, v56, v23
	v_fma_f16 v49, v51, s16, v49
	v_fma_f16 v51, v51, s16, v58
	v_add_f16_e32 v58, v21, v27
	v_add_f16_e32 v56, v56, v25
	v_fma_f16 v31, v58, -0.5, v31
	v_add_f16_e32 v56, v56, v27
	v_fma_f16 v58, v47, s2, v31
	v_sub_f16_e32 v21, v23, v21
	v_sub_f16_e32 v23, v25, v27
	v_add_f16_e32 v27, v48, v50
	v_fma_f16 v58, v36, s4, v58
	v_add_f16_e32 v21, v21, v23
	v_fma_f16 v25, v47, s5, v31
	v_fma_f16 v27, v27, -0.5, v54
	v_sub_f16_e32 v31, v22, v28
	v_fma_f16 v23, v21, s16, v58
	v_fma_f16 v25, v36, s3, v25
	;; [unrolled: 1-line block ×3, first 2 shown]
	v_sub_f16_e32 v47, v24, v26
	v_sub_f16_e32 v58, v46, v48
	;; [unrolled: 1-line block ×3, first 2 shown]
	v_fma_f16 v27, v31, s5, v27
	v_fma_f16 v36, v47, s3, v36
	v_add_f16_e32 v58, v58, v60
	v_fma_f16 v27, v47, s4, v27
	v_fma_f16 v36, v58, s16, v36
	;; [unrolled: 1-line block ×3, first 2 shown]
	v_add_f16_e32 v58, v46, v52
	v_fma_f16 v21, v21, s16, v25
	v_add_f16_e32 v25, v54, v46
	v_fma_f16 v54, v58, -0.5, v54
	v_add_f16_e32 v25, v25, v48
	v_fma_f16 v58, v47, s5, v54
	v_fma_f16 v47, v47, s2, v54
	v_add_f16_e32 v54, v24, v26
	v_add_f16_e32 v25, v25, v50
	v_sub_f16_e32 v60, v48, v46
	v_sub_f16_e32 v61, v50, v52
	v_fma_f16 v54, v54, -0.5, v20
	v_sub_f16_e32 v46, v46, v52
	v_add_f16_e32 v25, v25, v52
	v_fma_f16 v58, v31, s3, v58
	v_add_f16_e32 v60, v60, v61
	v_fma_f16 v31, v31, s4, v47
	v_fma_f16 v52, v46, s5, v54
	v_sub_f16_e32 v48, v48, v50
	v_fma_f16 v58, v60, s16, v58
	v_fma_f16 v31, v60, s16, v31
	;; [unrolled: 1-line block ×3, first 2 shown]
	v_sub_f16_e32 v52, v22, v24
	v_sub_f16_e32 v60, v28, v26
	v_fma_f16 v54, v46, s2, v54
	v_add_f16_e32 v52, v52, v60
	v_fma_f16 v54, v48, s3, v54
	v_fma_f16 v50, v52, s16, v50
	;; [unrolled: 1-line block ×3, first 2 shown]
	v_add_f16_e32 v54, v22, v28
	v_add_f16_e32 v47, v20, v22
	v_fma_f16 v20, v54, -0.5, v20
	v_add_f16_e32 v47, v47, v24
	v_fma_f16 v54, v48, s2, v20
	v_sub_f16_e32 v22, v24, v22
	v_sub_f16_e32 v24, v26, v28
	v_fma_f16 v20, v48, s5, v20
	v_fma_f16 v54, v46, s4, v54
	v_add_f16_e32 v22, v22, v24
	v_fma_f16 v20, v46, s3, v20
	v_add_f16_e32 v47, v47, v26
	v_fma_f16 v24, v22, s16, v54
	v_fma_f16 v20, v22, s16, v20
	v_mul_f16_e32 v26, 0x38b4, v50
	v_mul_f16_e32 v54, 0x34f2, v31
	v_fma_f16 v26, v36, s18, v26
	v_fma_f16 v54, v20, s2, -v54
	v_mul_f16_e32 v36, 0xb8b4, v36
	v_mul_f16_e32 v20, 0x34f2, v20
	v_add_f16_e32 v47, v47, v28
	v_mul_f16_e32 v46, 0x3b9c, v24
	v_fma_f16 v50, v50, s18, v36
	v_mul_f16_e32 v36, 0xbb9c, v58
	v_fma_f16 v20, v31, s5, -v20
	v_add_f16_e32 v22, v53, v25
	v_add_f16_e32 v28, v57, v26
	v_fma_f16 v46, v58, s16, v46
	v_mul_f16_e32 v61, 0x3a79, v27
	v_add_f16_e32 v63, v56, v47
	v_add_f16_e32 v64, v49, v50
	v_fma_f16 v24, v24, s16, v36
	v_add_f16_e32 v31, v21, v20
	v_mul_f16_e32 v36, 0x3a79, v52
	v_sub_f16_e32 v20, v21, v20
	v_mul_u32_u24_e32 v21, 0x28a, v29
	v_add_f16_e32 v48, v59, v46
	v_add_f16_e32 v60, v19, v54
	v_fma_f16 v61, v52, s3, -v61
	v_add_f16_e32 v58, v23, v24
	v_fma_f16 v27, v27, s4, -v36
	v_sub_f16_e32 v25, v53, v25
	v_sub_f16_e32 v53, v59, v46
	v_add_lshl_u32 v46, v21, v30, 2
	v_pack_b32_f16 v21, v22, v63
	v_pack_b32_f16 v22, v28, v64
	v_add_f16_e32 v62, v55, v61
	v_add_f16_e32 v52, v51, v27
	v_sub_f16_e32 v19, v19, v54
	v_sub_f16_e32 v54, v56, v47
	ds_write2_b32 v46, v21, v22 offset1:65
	v_pack_b32_f16 v21, v48, v58
	v_pack_b32_f16 v22, v60, v31
	v_sub_f16_e32 v26, v57, v26
	v_sub_f16_e32 v49, v49, v50
	;; [unrolled: 1-line block ×3, first 2 shown]
	ds_write2_b32 v46, v21, v22 offset0:130 offset1:195
	v_pack_b32_f16 v21, v62, v52
	v_pack_b32_f16 v22, v25, v54
	v_add_u32_e32 v24, 0x400, v46
	v_sub_f16_e32 v36, v55, v61
	v_sub_f16_e32 v47, v51, v27
	ds_write2_b32 v24, v21, v22 offset0:4 offset1:69
	v_pack_b32_f16 v21, v26, v49
	v_pack_b32_f16 v22, v53, v23
	ds_write2_b32 v24, v21, v22 offset0:134 offset1:199
	v_pack_b32_f16 v19, v19, v20
	v_pack_b32_f16 v20, v36, v47
	v_add_u32_e32 v21, 0x800, v46
	v_add_u32_e32 v48, 0xa00, v39
	;; [unrolled: 1-line block ×3, first 2 shown]
	ds_write2_b32 v21, v19, v20 offset0:8 offset1:73
	s_waitcnt lgkmcnt(0)
	s_barrier
	ds_read2_b32 v[28:29], v39 offset1:195
	ds_read2_b32 v[25:26], v48 offset0:10 offset1:205
	ds_read2_b32 v[30:31], v49 offset0:20 offset1:215
	ds_read_b32 v50, v39 offset:1560
	ds_read_b32 v51, v39 offset:4160
	;; [unrolled: 1-line block ×3, first 2 shown]
	v_cmp_gt_u16_e64 s[2:3], s17, v38
	s_and_saveexec_b64 s[4:5], s[2:3]
	s_cbranch_execz .LBB0_9
; %bb.8:
	ds_read_b32 v36, v39 offset:2340
	ds_read_b32 v32, v39 offset:4940
	;; [unrolled: 1-line block ×3, first 2 shown]
	s_waitcnt lgkmcnt(2)
	v_lshrrev_b32_e32 v47, 16, v36
	s_waitcnt lgkmcnt(1)
	v_lshrrev_b32_e32 v34, 16, v32
	;; [unrolled: 2-line block ×3, first 2 shown]
.LBB0_9:
	s_or_b64 exec, exec, s[4:5]
	v_lshlrev_b64 v[17:18], 3, v[17:18]
	v_mov_b32_e32 v52, s15
	v_add_co_u32_e32 v17, vcc, s14, v17
	v_lshlrev_b32_e32 v23, 3, v38
	v_addc_co_u32_e32 v18, vcc, v52, v18, vcc
	global_load_dwordx2 v[19:20], v23, s[14:15] offset:2548
	global_load_dwordx2 v[21:22], v[17:18], off offset:2548
	v_add_u32_e32 v17, 0xc30, v23
	global_load_dwordx2 v[23:24], v17, s[14:15] offset:2548
	v_add_co_u32_e32 v17, vcc, 0x249, v38
	s_movk_i32 s15, 0xffbf
	v_addc_co_u32_e64 v18, s[4:5], 0, 0, vcc
	v_add_co_u32_e32 v53, vcc, s15, v38
	v_addc_co_u32_e64 v54, s[4:5], 0, -1, vcc
	v_cndmask_b32_e64 v18, v54, v18, s[2:3]
	v_cndmask_b32_e64 v17, v53, v17, s[2:3]
	v_lshlrev_b64 v[17:18], 3, v[17:18]
	s_waitcnt lgkmcnt(4)
	v_lshrrev_b32_e32 v53, 16, v25
	v_add_co_u32_e32 v17, vcc, s14, v17
	v_addc_co_u32_e32 v18, vcc, v52, v18, vcc
	global_load_dwordx2 v[17:18], v[17:18], off offset:2548
	s_waitcnt lgkmcnt(3)
	v_lshrrev_b32_e32 v54, 16, v30
	v_lshrrev_b32_e32 v56, 16, v26
	;; [unrolled: 1-line block ×4, first 2 shown]
	s_waitcnt lgkmcnt(1)
	v_lshrrev_b32_e32 v59, 16, v51
	s_waitcnt lgkmcnt(0)
	v_lshrrev_b32_e32 v60, 16, v27
	v_lshrrev_b32_e32 v55, 16, v29
	s_movk_i32 s4, 0x3aee
	s_mov_b32 s5, 0xbaee
	v_lshrrev_b32_e32 v58, 16, v50
	s_waitcnt vmcnt(3)
	v_mul_f16_sdwa v61, v53, v19 dst_sel:DWORD dst_unused:UNUSED_PAD src0_sel:DWORD src1_sel:WORD_1
	v_mul_f16_sdwa v62, v25, v19 dst_sel:DWORD dst_unused:UNUSED_PAD src0_sel:DWORD src1_sel:WORD_1
	;; [unrolled: 1-line block ×3, first 2 shown]
	v_fma_f16 v25, v25, v19, -v61
	v_mul_f16_sdwa v64, v30, v20 dst_sel:DWORD dst_unused:UNUSED_PAD src0_sel:DWORD src1_sel:WORD_1
	v_fma_f16 v30, v30, v20, -v63
	s_waitcnt vmcnt(2)
	v_mul_f16_sdwa v61, v56, v21 dst_sel:DWORD dst_unused:UNUSED_PAD src0_sel:DWORD src1_sel:WORD_1
	v_mul_f16_sdwa v63, v57, v22 dst_sel:DWORD dst_unused:UNUSED_PAD src0_sel:DWORD src1_sel:WORD_1
	v_add_f16_e32 v69, v28, v25
	v_fma_f16 v53, v53, v19, v62
	v_fma_f16 v54, v54, v20, v64
	v_mul_f16_sdwa v62, v26, v21 dst_sel:DWORD dst_unused:UNUSED_PAD src0_sel:DWORD src1_sel:WORD_1
	v_mul_f16_sdwa v64, v31, v22 dst_sel:DWORD dst_unused:UNUSED_PAD src0_sel:DWORD src1_sel:WORD_1
	s_waitcnt vmcnt(1)
	v_mul_f16_sdwa v66, v51, v23 dst_sel:DWORD dst_unused:UNUSED_PAD src0_sel:DWORD src1_sel:WORD_1
	v_add_f16_e32 v70, v25, v30
	v_sub_f16_e32 v73, v25, v30
	v_fma_f16 v61, v26, v21, -v61
	v_fma_f16 v31, v31, v22, -v63
	v_add_f16_e32 v25, v69, v30
	v_mul_f16_sdwa v65, v59, v23 dst_sel:DWORD dst_unused:UNUSED_PAD src0_sel:DWORD src1_sel:WORD_1
	v_mul_f16_sdwa v67, v60, v24 dst_sel:DWORD dst_unused:UNUSED_PAD src0_sel:DWORD src1_sel:WORD_1
	s_waitcnt vmcnt(0)
	v_mul_f16_sdwa v30, v34, v17 dst_sel:DWORD dst_unused:UNUSED_PAD src0_sel:DWORD src1_sel:WORD_1
	v_sub_f16_e32 v71, v53, v54
	v_add_f16_e32 v72, v52, v53
	v_add_f16_e32 v53, v53, v54
	v_fma_f16 v56, v56, v21, v62
	v_fma_f16 v57, v57, v22, v64
	;; [unrolled: 1-line block ×3, first 2 shown]
	v_fma_f16 v66, v32, v17, -v30
	v_add_f16_e32 v30, v61, v31
	v_mul_f16_sdwa v68, v27, v24 dst_sel:DWORD dst_unused:UNUSED_PAD src0_sel:DWORD src1_sel:WORD_1
	v_fma_f16 v62, v51, v23, -v65
	v_fma_f16 v63, v27, v24, -v67
	v_fma_f16 v27, v70, -0.5, v28
	v_add_f16_e32 v51, v72, v54
	v_fma_f16 v28, v53, -0.5, v52
	v_mul_f16_sdwa v54, v32, v17 dst_sel:DWORD dst_unused:UNUSED_PAD src0_sel:DWORD src1_sel:WORD_1
	v_fma_f16 v30, v30, -0.5, v29
	v_sub_f16_e32 v32, v56, v57
	v_fma_f16 v52, v73, s5, v28
	v_fma_f16 v53, v73, s4, v28
	v_add_f16_e32 v28, v29, v61
	v_fma_f16 v29, v32, s4, v30
	v_fma_f16 v30, v32, s5, v30
	v_add_f16_e32 v32, v55, v56
	v_fma_f16 v67, v34, v17, v54
	v_add_f16_e32 v54, v32, v57
	v_add_f16_e32 v32, v56, v57
	;; [unrolled: 1-line block ×3, first 2 shown]
	v_fma_f16 v32, v32, -0.5, v55
	v_sub_f16_e32 v31, v61, v31
	v_fma_f16 v60, v60, v24, v68
	v_mul_f16_sdwa v65, v35, v18 dst_sel:DWORD dst_unused:UNUSED_PAD src0_sel:DWORD src1_sel:WORD_1
	v_fma_f16 v55, v31, s5, v32
	v_fma_f16 v56, v31, s4, v32
	v_add_f16_e32 v32, v62, v63
	v_mul_f16_sdwa v64, v33, v18 dst_sel:DWORD dst_unused:UNUSED_PAD src0_sel:DWORD src1_sel:WORD_1
	v_fma_f16 v65, v33, v18, v65
	v_fma_f16 v33, v32, -0.5, v50
	v_sub_f16_e32 v34, v59, v60
	v_fma_f16 v32, v34, s4, v33
	v_fma_f16 v33, v34, s5, v33
	v_add_f16_e32 v34, v58, v59
	v_add_f16_e32 v57, v34, v60
	;; [unrolled: 1-line block ×3, first 2 shown]
	v_fma_f16 v64, v35, v18, -v64
	v_fma_f16 v34, v34, -0.5, v58
	v_sub_f16_e32 v35, v62, v63
	v_fma_f16 v58, v35, s5, v34
	v_fma_f16 v59, v35, s4, v34
	v_add_f16_e32 v35, v66, v64
	v_add_f16_e32 v31, v50, v62
	v_add_f16_e32 v34, v36, v66
	v_fma_f16 v36, v35, -0.5, v36
	v_sub_f16_e32 v50, v67, v65
	v_fma_f16 v35, v50, s4, v36
	v_fma_f16 v36, v50, s5, v36
	v_add_f16_e32 v50, v47, v67
	v_add_f16_e32 v60, v50, v65
	;; [unrolled: 1-line block ×3, first 2 shown]
	v_fma_f16 v47, v50, -0.5, v47
	v_sub_f16_e32 v50, v66, v64
	v_fma_f16 v26, v71, s4, v27
	v_add_f16_e32 v34, v34, v64
	v_fma_f16 v61, v50, s5, v47
	v_fma_f16 v62, v50, s4, v47
	v_pack_b32_f16 v47, v25, v51
	v_pack_b32_f16 v64, v28, v54
	v_fma_f16 v27, v71, s5, v27
	v_pack_b32_f16 v50, v26, v52
	ds_write2_b32 v39, v47, v64 offset1:195
	v_pack_b32_f16 v47, v29, v55
	v_add_f16_e32 v31, v31, v63
	v_pack_b32_f16 v63, v27, v53
	ds_write2_b32 v48, v50, v47 offset0:10 offset1:205
	v_pack_b32_f16 v47, v30, v56
	ds_write2_b32 v49, v63, v47 offset0:20 offset1:215
	v_pack_b32_f16 v47, v31, v57
	ds_write_b32 v39, v47 offset:1560
	v_pack_b32_f16 v47, v32, v58
	ds_write_b32 v39, v47 offset:4160
	;; [unrolled: 2-line block ×3, first 2 shown]
	s_and_saveexec_b64 s[4:5], s[2:3]
	s_cbranch_execz .LBB0_11
; %bb.10:
	s_mov_b32 s14, 0x5040100
	v_perm_b32 v47, v60, v34, s14
	ds_write_b32 v39, v47 offset:2340
	v_perm_b32 v47, v61, v35, s14
	ds_write_b32 v39, v47 offset:4940
	;; [unrolled: 2-line block ×3, first 2 shown]
.LBB0_11:
	s_or_b64 exec, exec, s[4:5]
	s_waitcnt lgkmcnt(0)
	s_barrier
	s_and_saveexec_b64 s[14:15], s[0:1]
	s_cbranch_execz .LBB0_13
; %bb.12:
	v_mov_b32_e32 v47, s7
	v_add_co_u32_e32 v63, vcc, s6, v37
	v_addc_co_u32_e32 v64, vcc, 0, v47, vcc
	v_add_co_u32_e32 v47, vcc, 0x1e78, v63
	s_mov_b64 s[4:5], vcc
	v_add_co_u32_e32 v48, vcc, 0x1000, v63
	v_addc_co_u32_e32 v49, vcc, 0, v64, vcc
	global_load_dword v65, v[48:49], off offset:3704
	s_movk_i32 s16, 0x2000
	v_addc_co_u32_e64 v48, vcc, 0, v64, s[4:5]
	global_load_dword v67, v[47:48], off offset:600
	global_load_dword v68, v[47:48], off offset:1200
	;; [unrolled: 1-line block ×4, first 2 shown]
	v_add_co_u32_e32 v49, vcc, s16, v63
	v_addc_co_u32_e32 v50, vcc, 0, v64, vcc
	global_load_dword v71, v[47:48], off offset:3000
	global_load_dword v72, v[49:50], off offset:3808
	;; [unrolled: 1-line block ×3, first 2 shown]
	s_movk_i32 s4, 0x3000
	v_add_co_u32_e32 v47, vcc, s4, v63
	v_addc_co_u32_e32 v48, vcc, 0, v64, vcc
	global_load_dword v74, v[47:48], off offset:312
	global_load_dword v75, v[47:48], off offset:912
	;; [unrolled: 1-line block ×5, first 2 shown]
	ds_read_b32 v49, v39
	v_add_u32_e32 v77, 0x200, v37
	v_add_u32_e32 v78, 0x600, v37
	;; [unrolled: 1-line block ×4, first 2 shown]
	s_waitcnt lgkmcnt(0)
	v_lshrrev_b32_e32 v50, 16, v49
	s_waitcnt vmcnt(12)
	v_mul_f16_sdwa v63, v50, v65 dst_sel:DWORD dst_unused:UNUSED_PAD src0_sel:DWORD src1_sel:WORD_1
	v_mul_f16_sdwa v64, v49, v65 dst_sel:DWORD dst_unused:UNUSED_PAD src0_sel:DWORD src1_sel:WORD_1
	v_fma_f16 v49, v49, v65, -v63
	v_fma_f16 v50, v50, v65, v64
	v_pack_b32_f16 v49, v49, v50
	ds_write_b32 v39, v49
	ds_read2_b32 v[49:50], v77 offset0:22 offset1:172
	ds_read2_b32 v[47:48], v78 offset0:66 offset1:216
	;; [unrolled: 1-line block ×4, first 2 shown]
	s_waitcnt lgkmcnt(2)
	v_lshrrev_b32_e32 v87, 16, v47
	v_lshrrev_b32_e32 v83, 16, v49
	s_waitcnt vmcnt(11)
	v_mul_f16_sdwa v84, v49, v67 dst_sel:DWORD dst_unused:UNUSED_PAD src0_sel:DWORD src1_sel:WORD_1
	v_lshrrev_b32_e32 v85, 16, v50
	s_waitcnt vmcnt(10)
	v_mul_f16_sdwa v86, v50, v68 dst_sel:DWORD dst_unused:UNUSED_PAD src0_sel:DWORD src1_sel:WORD_1
	s_waitcnt vmcnt(9)
	v_mul_f16_sdwa v88, v47, v69 dst_sel:DWORD dst_unused:UNUSED_PAD src0_sel:DWORD src1_sel:WORD_1
	v_lshrrev_b32_e32 v89, 16, v48
	s_waitcnt vmcnt(8)
	v_mul_f16_sdwa v90, v48, v70 dst_sel:DWORD dst_unused:UNUSED_PAD src0_sel:DWORD src1_sel:WORD_1
	s_waitcnt lgkmcnt(1)
	v_lshrrev_b32_e32 v91, 16, v63
	s_waitcnt vmcnt(7)
	v_mul_f16_sdwa v92, v63, v71 dst_sel:DWORD dst_unused:UNUSED_PAD src0_sel:DWORD src1_sel:WORD_1
	v_lshrrev_b32_e32 v93, 16, v64
	v_mul_f16_sdwa v97, v83, v67 dst_sel:DWORD dst_unused:UNUSED_PAD src0_sel:DWORD src1_sel:WORD_1
	v_fma_f16 v83, v83, v67, v84
	v_mul_f16_sdwa v84, v85, v68 dst_sel:DWORD dst_unused:UNUSED_PAD src0_sel:DWORD src1_sel:WORD_1
	s_waitcnt vmcnt(5)
	v_mul_f16_sdwa v94, v64, v73 dst_sel:DWORD dst_unused:UNUSED_PAD src0_sel:DWORD src1_sel:WORD_1
	v_fma_f16 v85, v85, v68, v86
	v_mul_f16_sdwa v86, v87, v69 dst_sel:DWORD dst_unused:UNUSED_PAD src0_sel:DWORD src1_sel:WORD_1
	v_fma_f16 v87, v87, v69, v88
	;; [unrolled: 2-line block ×4, first 2 shown]
	v_mul_f16_sdwa v92, v93, v73 dst_sel:DWORD dst_unused:UNUSED_PAD src0_sel:DWORD src1_sel:WORD_1
	v_fma_f16 v49, v49, v67, -v97
	v_fma_f16 v50, v50, v68, -v84
	v_fma_f16 v93, v93, v73, v94
	v_fma_f16 v47, v47, v69, -v86
	v_fma_f16 v48, v48, v70, -v88
	v_fma_f16 v63, v63, v71, -v90
	v_fma_f16 v64, v64, v73, -v92
	v_pack_b32_f16 v49, v49, v83
	v_pack_b32_f16 v50, v50, v85
	;; [unrolled: 1-line block ×6, first 2 shown]
	ds_write2_b32 v77, v49, v50 offset0:22 offset1:172
	ds_write2_b32 v78, v47, v48 offset0:66 offset1:216
	;; [unrolled: 1-line block ×3, first 2 shown]
	s_waitcnt lgkmcnt(3)
	v_lshrrev_b32_e32 v50, 16, v66
	v_lshrrev_b32_e32 v95, 16, v65
	s_waitcnt vmcnt(4)
	v_mul_f16_sdwa v47, v50, v74 dst_sel:DWORD dst_unused:UNUSED_PAD src0_sel:DWORD src1_sel:WORD_1
	v_add_u32_e32 v64, 0x1400, v37
	v_mul_f16_sdwa v96, v65, v72 dst_sel:DWORD dst_unused:UNUSED_PAD src0_sel:DWORD src1_sel:WORD_1
	v_mul_f16_sdwa v94, v95, v72 dst_sel:DWORD dst_unused:UNUSED_PAD src0_sel:DWORD src1_sel:WORD_1
	v_fma_f16 v63, v66, v74, -v47
	ds_read2_b32 v[47:48], v64 offset0:70 offset1:220
	v_fma_f16 v95, v95, v72, v96
	v_fma_f16 v65, v65, v72, -v94
	v_pack_b32_f16 v49, v65, v95
	v_mul_f16_sdwa v65, v66, v74 dst_sel:DWORD dst_unused:UNUSED_PAD src0_sel:DWORD src1_sel:WORD_1
	v_fma_f16 v50, v50, v74, v65
	v_pack_b32_f16 v50, v63, v50
	ds_write2_b32 v80, v49, v50 offset0:26 offset1:176
	s_waitcnt lgkmcnt(1)
	v_lshrrev_b32_e32 v49, 16, v47
	s_waitcnt vmcnt(3)
	v_mul_f16_sdwa v50, v49, v75 dst_sel:DWORD dst_unused:UNUSED_PAD src0_sel:DWORD src1_sel:WORD_1
	v_fma_f16 v50, v47, v75, -v50
	v_mul_f16_sdwa v47, v47, v75 dst_sel:DWORD dst_unused:UNUSED_PAD src0_sel:DWORD src1_sel:WORD_1
	v_lshrrev_b32_e32 v63, 16, v48
	v_fma_f16 v47, v49, v75, v47
	s_waitcnt vmcnt(2)
	v_mul_f16_sdwa v49, v63, v76 dst_sel:DWORD dst_unused:UNUSED_PAD src0_sel:DWORD src1_sel:WORD_1
	v_add_u32_e32 v66, 0x1900, v37
	v_pack_b32_f16 v47, v50, v47
	v_fma_f16 v65, v48, v76, -v49
	ds_read2_b32 v[49:50], v66 offset0:50 offset1:200
	v_mul_f16_sdwa v48, v48, v76 dst_sel:DWORD dst_unused:UNUSED_PAD src0_sel:DWORD src1_sel:WORD_1
	v_fma_f16 v48, v63, v76, v48
	v_pack_b32_f16 v48, v65, v48
	ds_write2_b32 v64, v47, v48 offset0:70 offset1:220
	s_waitcnt lgkmcnt(1)
	v_lshrrev_b32_e32 v47, 16, v49
	s_waitcnt vmcnt(1)
	v_mul_f16_sdwa v48, v47, v81 dst_sel:DWORD dst_unused:UNUSED_PAD src0_sel:DWORD src1_sel:WORD_1
	v_fma_f16 v48, v49, v81, -v48
	v_mul_f16_sdwa v49, v49, v81 dst_sel:DWORD dst_unused:UNUSED_PAD src0_sel:DWORD src1_sel:WORD_1
	v_fma_f16 v47, v47, v81, v49
	v_pack_b32_f16 v47, v48, v47
	v_lshrrev_b32_e32 v48, 16, v50
	s_waitcnt vmcnt(0)
	v_mul_f16_sdwa v49, v48, v82 dst_sel:DWORD dst_unused:UNUSED_PAD src0_sel:DWORD src1_sel:WORD_1
	v_fma_f16 v49, v50, v82, -v49
	v_mul_f16_sdwa v50, v50, v82 dst_sel:DWORD dst_unused:UNUSED_PAD src0_sel:DWORD src1_sel:WORD_1
	v_fma_f16 v48, v48, v82, v50
	v_pack_b32_f16 v48, v49, v48
	ds_write2_b32 v66, v47, v48 offset0:50 offset1:200
.LBB0_13:
	s_or_b64 exec, exec, s[14:15]
	s_waitcnt lgkmcnt(0)
	s_barrier
	s_and_saveexec_b64 s[4:5], s[0:1]
	s_cbranch_execz .LBB0_15
; %bb.14:
	v_add_u32_e32 v27, 0x400, v39
	v_add_u32_e32 v29, 0x800, v39
	;; [unrolled: 1-line block ×5, first 2 shown]
	ds_read2_b32 v[25:26], v39 offset1:150
	ds_read2_b32 v[27:28], v27 offset0:44 offset1:194
	ds_read2_b32 v[29:30], v29 offset0:88 offset1:238
	;; [unrolled: 1-line block ×5, first 2 shown]
	ds_read_b32 v41, v39 offset:7200
	s_waitcnt lgkmcnt(6)
	v_lshrrev_b32_e32 v51, 16, v25
	v_lshrrev_b32_e32 v52, 16, v26
	s_waitcnt lgkmcnt(5)
	v_lshrrev_b32_e32 v53, 16, v27
	v_lshrrev_b32_e32 v54, 16, v28
	;; [unrolled: 3-line block ×6, first 2 shown]
	s_waitcnt lgkmcnt(0)
	v_lshrrev_b32_e32 v42, 16, v41
.LBB0_15:
	s_or_b64 exec, exec, s[4:5]
	v_sub_f16_e32 v75, v52, v42
	v_add_f16_e32 v63, v41, v26
	v_add_f16_e32 v76, v42, v52
	s_movk_i32 s14, 0x388b
	v_mul_f16_e32 v78, 0xba95, v75
	v_sub_f16_e32 v77, v53, v62
	v_sub_f16_e32 v64, v26, v41
	s_mov_b32 s16, 0xba95
	v_mul_f16_e32 v84, 0x388b, v76
	v_fma_f16 v47, v63, s14, -v78
	v_add_f16_e32 v65, v36, v27
	v_add_f16_e32 v79, v62, v53
	s_mov_b32 s17, 0xb5ac
	v_mul_f16_e32 v83, 0xbb7b, v77
	v_add_f16_e32 v47, v25, v47
	v_fma_f16 v48, v64, s16, v84
	s_movk_i32 s15, 0x2fb7
	v_mul_f16_e32 v93, 0xbbf1, v75
	v_sub_f16_e32 v66, v27, v36
	s_mov_b32 s20, 0xbb7b
	v_mul_f16_e32 v88, 0xb5ac, v79
	v_fma_f16 v67, v65, s17, -v83
	v_add_f16_e32 v48, v51, v48
	s_mov_b32 s18, 0xbbf1
	v_mul_f16_e32 v100, 0x2fb7, v76
	v_fma_f16 v49, v63, s15, -v93
	v_add_f16_e32 v47, v67, v47
	v_fma_f16 v67, v66, s20, v88
	s_mov_b32 s19, 0xbbc4
	v_mul_f16_e32 v97, 0xb3a8, v77
	v_add_f16_e32 v49, v25, v49
	v_fma_f16 v50, v64, s18, v100
	v_add_f16_e32 v48, v67, v48
	s_mov_b32 s21, 0xb3a8
	v_mul_f16_e32 v104, 0xbbc4, v79
	v_fma_f16 v67, v65, s19, -v97
	v_add_f16_e32 v50, v51, v50
	v_add_f16_e32 v49, v67, v49
	v_fma_f16 v67, v66, s21, v104
	v_sub_f16_e32 v80, v54, v61
	v_add_f16_e32 v50, v67, v50
	v_add_f16_e32 v67, v35, v28
	;; [unrolled: 1-line block ×3, first 2 shown]
	v_mul_f16_e32 v87, 0xb3a8, v80
	v_sub_f16_e32 v68, v28, v35
	v_mul_f16_e32 v91, 0xbbc4, v82
	v_fma_f16 v69, v67, s19, -v87
	v_add_f16_e32 v47, v69, v47
	v_fma_f16 v69, v68, s21, v91
	v_mul_f16_e32 v101, 0x3b7b, v80
	v_add_f16_e32 v48, v69, v48
	s_movk_i32 s30, 0x3b7b
	v_mul_f16_e32 v106, 0xb5ac, v82
	v_fma_f16 v69, v67, s17, -v101
	v_add_f16_e32 v49, v69, v49
	v_fma_f16 v69, v68, s30, v106
	v_sub_f16_e32 v81, v55, v60
	v_add_f16_e32 v50, v69, v50
	v_add_f16_e32 v69, v34, v29
	v_add_f16_e32 v85, v60, v55
	s_mov_b32 s22, 0xb9fd
	v_mul_f16_e32 v92, 0x394e, v81
	v_sub_f16_e32 v70, v29, v34
	s_movk_i32 s24, 0x394e
	v_mul_f16_e32 v95, 0xb9fd, v85
	v_fma_f16 v71, v69, s22, -v92
	v_add_f16_e32 v47, v71, v47
	v_fma_f16 v71, v70, s24, v95
	s_movk_i32 s23, 0x3b15
	v_mul_f16_e32 v103, 0x3770, v81
	v_add_f16_e32 v48, v71, v48
	s_movk_i32 s25, 0x3770
	v_mul_f16_e32 v108, 0x3b15, v85
	v_fma_f16 v71, v69, s23, -v103
	v_add_f16_e32 v49, v71, v49
	v_fma_f16 v71, v70, s25, v108
	v_sub_f16_e32 v86, v56, v59
	v_add_f16_e32 v50, v71, v50
	v_add_f16_e32 v71, v33, v30
	;; [unrolled: 1-line block ×3, first 2 shown]
	v_mul_f16_e32 v96, 0x3bf1, v86
	v_sub_f16_e32 v72, v30, v33
	s_movk_i32 s27, 0x3bf1
	v_mul_f16_e32 v98, 0x2fb7, v90
	v_fma_f16 v73, v71, s15, -v96
	v_add_f16_e32 v47, v73, v47
	v_fma_f16 v73, v72, s27, v98
	v_mul_f16_e32 v105, 0xba95, v86
	v_add_f16_e32 v48, v73, v48
	v_mul_f16_e32 v109, 0x388b, v90
	v_fma_f16 v73, v71, s14, -v105
	v_sub_f16_e32 v89, v57, v58
	v_add_f16_e32 v111, v73, v49
	v_fma_f16 v49, v72, s16, v109
	v_add_f16_e32 v73, v32, v31
	v_add_f16_e32 v94, v58, v57
	v_mul_f16_e32 v99, 0x3770, v89
	v_add_f16_e32 v50, v49, v50
	v_sub_f16_e32 v74, v31, v32
	v_mul_f16_e32 v102, 0x3b15, v94
	v_fma_f16 v49, v73, s23, -v99
	v_add_f16_e32 v47, v49, v47
	v_fma_f16 v49, v74, s25, v102
	v_mul_f16_e32 v107, 0xb94e, v89
	v_add_f16_e32 v49, v49, v48
	s_mov_b32 s26, 0xb94e
	v_mul_f16_e32 v110, 0xb9fd, v94
	v_fma_f16 v48, v73, s22, -v107
	v_add_f16_e32 v48, v48, v111
	v_fma_f16 v111, v74, s26, v110
	v_add_f16_e32 v50, v111, v50
	s_barrier
	s_and_saveexec_b64 s[4:5], s[0:1]
	s_cbranch_execz .LBB0_17
; %bb.16:
	v_mul_f16_e32 v111, 0xbbc4, v76
	s_movk_i32 s29, 0x33a8
	v_fma_f16 v112, v64, s29, v111
	v_mul_f16_e32 v113, 0x3b15, v79
	s_mov_b32 s28, 0xb770
	v_add_f16_e32 v112, v51, v112
	v_fma_f16 v114, v66, s28, v113
	v_add_f16_e32 v112, v114, v112
	v_mul_f16_e32 v114, 0xb9fd, v82
	v_fma_f16 v115, v68, s24, v114
	v_add_f16_e32 v112, v115, v112
	v_mul_f16_e32 v115, 0x388b, v85
	;; [unrolled: 3-line block ×5, first 2 shown]
	v_fma_f16 v119, v63, s19, v118
	v_mul_f16_e32 v120, 0x3770, v77
	v_add_f16_e32 v119, v25, v119
	v_fma_f16 v121, v65, s23, v120
	v_add_f16_e32 v119, v121, v119
	v_mul_f16_e32 v121, 0xb94e, v80
	v_fma_f16 v122, v67, s22, v121
	v_add_f16_e32 v119, v122, v119
	v_mul_f16_e32 v122, 0x3a95, v81
	;; [unrolled: 3-line block ×5, first 2 shown]
	v_fma_f16 v126, v64, s24, v125
	v_mul_f16_e32 v127, 0x2fb7, v79
	v_add_f16_e32 v126, v51, v126
	v_fma_f16 v128, v66, s18, v127
	s_movk_i32 s31, 0x3a95
	v_add_f16_e32 v126, v128, v126
	v_mul_f16_e32 v128, 0x388b, v82
	v_fma_f16 v129, v68, s31, v128
	v_add_f16_e32 v126, v129, v126
	v_mul_f16_e32 v129, 0xbbc4, v85
	v_fma_f16 v130, v70, s21, v129
	v_add_f16_e32 v126, v130, v126
	v_mul_f16_e32 v130, 0x3b15, v90
	v_fma_f16 v131, v72, s28, v130
	v_add_f16_e32 v126, v131, v126
	v_mul_f16_e32 v131, 0xb5ac, v94
	v_fma_f16 v132, v74, s30, v131
	v_add_f16_e32 v126, v132, v126
	v_mul_f16_e32 v132, 0xb94e, v75
	v_fma_f16 v133, v63, s22, v132
	v_mul_f16_e32 v134, 0x3bf1, v77
	v_add_f16_e32 v133, v25, v133
	v_fma_f16 v135, v65, s15, v134
	v_add_f16_e32 v133, v135, v133
	v_mul_f16_e32 v135, 0xba95, v80
	v_fma_f16 v136, v67, s14, v135
	v_add_f16_e32 v133, v136, v133
	v_mul_f16_e32 v136, 0x33a8, v81
	v_fma_f16 v137, v69, s19, v136
	v_add_f16_e32 v133, v137, v133
	v_mul_f16_e32 v137, 0x3770, v86
	v_fma_f16 v138, v71, s23, v137
	v_add_f16_e32 v133, v138, v133
	v_mul_f16_e32 v138, 0xbb7b, v89
	v_fma_f16 v139, v73, s17, v138
	v_add_f16_e32 v133, v139, v133
	v_mul_f16_e32 v139, 0xb5ac, v76
	v_fma_f16 v140, v64, s30, v139
	v_mul_f16_e32 v141, 0xb9fd, v79
	v_add_f16_e32 v140, v51, v140
	v_fma_f16 v142, v66, s26, v141
	;; [unrolled: 18-line block ×3, first 2 shown]
	v_add_f16_e32 v26, v26, v25
	v_add_f16_e32 v147, v149, v147
	v_mul_f16_e32 v149, 0x3770, v80
	v_add_f16_e32 v26, v27, v26
	v_fma_f16 v150, v67, s23, v149
	v_add_f16_e32 v26, v28, v26
	v_fma_f16 v28, v64, s21, v111
	v_add_f16_e32 v147, v150, v147
	v_mul_f16_e32 v150, 0xbbf1, v81
	v_add_f16_e32 v26, v29, v26
	v_add_f16_e32 v28, v51, v28
	v_fma_f16 v29, v66, s25, v113
	v_fma_f16 v151, v69, s15, v150
	v_add_f16_e32 v28, v29, v28
	v_fma_f16 v29, v68, s26, v114
	v_add_f16_e32 v147, v151, v147
	v_mul_f16_e32 v151, 0x33a8, v86
	v_add_f16_e32 v28, v29, v28
	v_fma_f16 v29, v70, s31, v115
	v_fma_f16 v152, v71, s19, v151
	v_add_f16_e32 v28, v29, v28
	v_fma_f16 v29, v72, s20, v116
	v_add_f16_e32 v147, v152, v147
	v_mul_f16_e32 v152, 0x3a95, v89
	v_add_f16_e32 v28, v29, v28
	v_fma_f16 v29, v74, s27, v117
	v_fma_f16 v153, v73, s14, v152
	v_add_f16_e32 v28, v29, v28
	v_fma_f16 v29, v63, s19, -v118
	v_add_f16_e32 v147, v153, v147
	v_mul_f16_e32 v153, 0xbbf1, v64
	v_add_f16_e32 v26, v30, v26
	v_add_f16_e32 v29, v25, v29
	v_fma_f16 v30, v65, s23, -v120
	v_sub_f16_e32 v100, v100, v153
	v_mul_f16_e32 v153, 0xb3a8, v66
	v_add_f16_e32 v29, v30, v29
	v_fma_f16 v30, v67, s22, -v121
	v_sub_f16_e32 v104, v104, v153
	v_add_f16_e32 v100, v51, v100
	v_add_f16_e32 v29, v30, v29
	v_fma_f16 v30, v69, s14, -v122
	v_add_f16_e32 v100, v104, v100
	v_mul_f16_e32 v104, 0x3b7b, v68
	v_add_f16_e32 v29, v30, v29
	v_fma_f16 v30, v71, s17, -v123
	v_sub_f16_e32 v104, v106, v104
	v_add_f16_e32 v29, v30, v29
	v_fma_f16 v30, v73, s15, -v124
	v_add_f16_e32 v100, v104, v100
	v_mul_f16_e32 v104, 0x3770, v70
	v_add_f16_e32 v29, v30, v29
	v_fma_f16 v30, v64, s26, v125
	v_sub_f16_e32 v104, v108, v104
	v_add_f16_e32 v26, v31, v26
	v_add_f16_e32 v30, v51, v30
	v_fma_f16 v31, v66, s27, v127
	v_add_f16_e32 v100, v104, v100
	v_mul_f16_e32 v104, 0xba95, v72
	v_add_f16_e32 v30, v31, v30
	v_fma_f16 v31, v68, s16, v128
	v_sub_f16_e32 v104, v109, v104
	v_add_f16_e32 v30, v31, v30
	v_fma_f16 v31, v70, s29, v129
	v_add_f16_e32 v100, v104, v100
	v_mul_f16_e32 v104, 0xb94e, v74
	v_add_f16_e32 v30, v31, v30
	v_fma_f16 v31, v72, s25, v130
	v_sub_f16_e32 v104, v110, v104
	v_add_f16_e32 v30, v31, v30
	v_fma_f16 v31, v74, s20, v131
	v_add_f16_e32 v100, v104, v100
	v_mul_f16_e32 v104, 0x2fb7, v63
	v_add_f16_e32 v30, v31, v30
	v_fma_f16 v31, v63, s22, -v132
	v_add_f16_e32 v93, v104, v93
	v_mul_f16_e32 v104, 0xbbc4, v65
	v_add_f16_e32 v26, v32, v26
	v_add_f16_e32 v31, v25, v31
	v_fma_f16 v32, v65, s15, -v134
	v_add_f16_e32 v97, v104, v97
	v_add_f16_e32 v93, v25, v93
	;; [unrolled: 1-line block ×3, first 2 shown]
	v_fma_f16 v32, v67, s14, -v135
	v_add_f16_e32 v93, v97, v93
	v_mul_f16_e32 v97, 0xb5ac, v67
	v_add_f16_e32 v31, v32, v31
	v_fma_f16 v32, v69, s19, -v136
	v_add_f16_e32 v97, v97, v101
	v_add_f16_e32 v31, v32, v31
	v_fma_f16 v32, v71, s23, -v137
	v_add_f16_e32 v93, v97, v93
	v_mul_f16_e32 v97, 0x3b15, v69
	v_add_f16_e32 v31, v32, v31
	v_fma_f16 v32, v73, s17, -v138
	v_add_f16_e32 v97, v97, v103
	v_add_f16_e32 v31, v32, v31
	v_fma_f16 v32, v64, s20, v139
	v_add_f16_e32 v93, v97, v93
	v_mul_f16_e32 v97, 0x388b, v71
	v_add_f16_e32 v26, v33, v26
	v_add_f16_e32 v32, v51, v32
	v_fma_f16 v33, v66, s24, v141
	v_mul_f16_e32 v104, 0x388b, v63
	v_add_f16_e32 v97, v97, v105
	v_add_f16_e32 v32, v33, v32
	v_fma_f16 v33, v68, s25, v142
	v_mul_f16_e32 v101, 0xba95, v64
	v_mul_f16_e32 v103, 0xb5ac, v65
	v_add_f16_e32 v93, v97, v93
	v_mul_f16_e32 v97, 0xb9fd, v73
	v_add_f16_e32 v78, v104, v78
	v_add_f16_e32 v32, v33, v32
	v_fma_f16 v33, v70, s18, v143
	v_mul_f16_e32 v105, 0xbb7b, v66
	v_add_f16_e32 v97, v97, v107
	v_mul_f16_e32 v106, 0xbbc4, v67
	v_sub_f16_e32 v84, v84, v101
	v_add_f16_e32 v78, v25, v78
	v_add_f16_e32 v83, v103, v83
	;; [unrolled: 1-line block ×3, first 2 shown]
	v_fma_f16 v33, v72, s29, v144
	v_add_f16_e32 v93, v97, v93
	v_mul_f16_e32 v97, 0xb3a8, v68
	v_mul_f16_e32 v101, 0xb9fd, v69
	v_sub_f16_e32 v88, v88, v105
	v_add_f16_e32 v84, v51, v84
	v_add_f16_e32 v78, v83, v78
	;; [unrolled: 1-line block ×4, first 2 shown]
	v_fma_f16 v33, v74, s31, v145
	v_add_f16_e32 v84, v88, v84
	v_mul_f16_e32 v88, 0x2fb7, v71
	v_sub_f16_e32 v91, v91, v97
	v_add_f16_e32 v78, v83, v78
	v_add_f16_e32 v83, v101, v92
	;; [unrolled: 1-line block ×3, first 2 shown]
	v_fma_f16 v33, v63, s17, -v146
	v_add_f16_e32 v84, v91, v84
	v_mul_f16_e32 v91, 0x3b15, v73
	v_add_f16_e32 v78, v83, v78
	v_add_f16_e32 v83, v88, v96
	;; [unrolled: 1-line block ×4, first 2 shown]
	v_fma_f16 v34, v65, s22, -v148
	v_add_f16_e32 v78, v83, v78
	v_add_f16_e32 v83, v91, v99
	v_mul_f16_e32 v76, 0x3b15, v76
	v_add_f16_e32 v33, v34, v33
	v_fma_f16 v34, v67, s23, -v149
	v_add_f16_e32 v78, v83, v78
	v_fma_f16 v83, v64, s25, v76
	v_mul_f16_e32 v79, 0x388b, v79
	v_add_f16_e32 v33, v34, v33
	v_fma_f16 v34, v69, s15, -v150
	v_add_f16_e32 v83, v51, v83
	v_fma_f16 v87, v66, s31, v79
	;; [unrolled: 5-line block ×4, first 2 shown]
	v_add_f16_e32 v27, v52, v51
	v_add_f16_e32 v33, v34, v33
	v_fma_f16 v34, v64, s28, v76
	v_add_f16_e32 v83, v87, v83
	v_mul_f16_e32 v87, 0xb9fd, v90
	v_add_f16_e32 v26, v35, v26
	v_add_f16_e32 v27, v53, v27
	;; [unrolled: 1-line block ×3, first 2 shown]
	v_fma_f16 v35, v66, s16, v79
	v_fma_f16 v88, v72, s24, v87
	v_add_f16_e32 v27, v54, v27
	v_add_f16_e32 v34, v35, v34
	v_fma_f16 v35, v68, s18, v82
	v_add_f16_e32 v83, v88, v83
	v_mul_f16_e32 v88, 0xbbc4, v94
	v_add_f16_e32 v27, v55, v27
	v_add_f16_e32 v34, v35, v34
	v_fma_f16 v35, v70, s20, v85
	v_fma_f16 v90, v74, s29, v88
	v_mul_f16_e32 v75, 0xb770, v75
	v_add_f16_e32 v27, v56, v27
	v_add_f16_e32 v34, v35, v34
	v_fma_f16 v35, v72, s26, v87
	v_add_f16_e32 v83, v90, v83
	v_fma_f16 v90, v63, s23, v75
	v_mul_f16_e32 v77, 0xba95, v77
	v_add_f16_e32 v27, v57, v27
	v_add_f16_e32 v34, v35, v34
	v_fma_f16 v35, v74, s21, v88
	v_add_f16_e32 v90, v25, v90
	v_fma_f16 v91, v65, s14, v77
	v_mul_f16_e32 v80, 0xbbf1, v80
	v_add_f16_e32 v27, v58, v27
	v_add_f16_e32 v34, v35, v34
	v_fma_f16 v35, v63, s23, -v75
	v_add_f16_e32 v90, v91, v90
	v_fma_f16 v91, v67, s15, v80
	v_mul_f16_e32 v81, 0xbb7b, v81
	v_add_f16_e32 v27, v59, v27
	v_add_f16_e32 v25, v25, v35
	v_fma_f16 v35, v65, s14, -v77
	v_mul_f16_e32 v105, 0x394e, v70
	v_add_f16_e32 v90, v91, v90
	v_fma_f16 v91, v69, s17, v81
	v_mul_f16_e32 v86, 0xb94e, v86
	v_add_f16_e32 v27, v60, v27
	v_add_f16_e32 v25, v35, v25
	v_fma_f16 v35, v67, s15, -v80
	v_mul_f16_e32 v97, 0x3bf1, v72
	v_sub_f16_e32 v95, v95, v105
	v_add_f16_e32 v90, v91, v90
	v_fma_f16 v91, v71, s22, v86
	v_mul_f16_e32 v89, 0xb3a8, v89
	v_add_f16_e32 v27, v61, v27
	v_add_f16_e32 v25, v35, v25
	v_fma_f16 v35, v69, s17, -v81
	v_mul_f16_e32 v105, 0x3770, v74
	v_add_f16_e32 v84, v95, v84
	v_sub_f16_e32 v95, v98, v97
	v_add_f16_e32 v90, v91, v90
	v_fma_f16 v91, v73, s19, v89
	v_add_f16_e32 v26, v36, v26
	v_add_f16_e32 v27, v62, v27
	;; [unrolled: 1-line block ×3, first 2 shown]
	v_fma_f16 v35, v71, s22, -v86
	v_add_f16_e32 v84, v95, v84
	v_sub_f16_e32 v95, v102, v105
	v_add_f16_e32 v90, v91, v90
	v_add_f16_e32 v26, v41, v26
	;; [unrolled: 1-line block ×4, first 2 shown]
	v_fma_f16 v35, v73, s19, -v89
	v_add_f16_e32 v84, v95, v84
	v_add_f16_e32 v25, v35, v25
	v_lshlrev_b32_e32 v35, 2, v40
	v_pack_b32_f16 v36, v90, v83
	v_pack_b32_f16 v26, v26, v27
	ds_write2_b32 v35, v26, v36 offset1:1
	v_pack_b32_f16 v26, v93, v100
	v_pack_b32_f16 v27, v78, v84
	ds_write2_b32 v35, v27, v26 offset0:2 offset1:3
	v_pack_b32_f16 v26, v133, v126
	v_pack_b32_f16 v27, v147, v140
	ds_write2_b32 v35, v27, v26 offset0:4 offset1:5
	;; [unrolled: 3-line block ×3, first 2 shown]
	v_pack_b32_f16 v26, v33, v32
	v_pack_b32_f16 v27, v31, v30
	s_mov_b32 s14, 0x5040100
	ds_write2_b32 v35, v27, v26 offset0:8 offset1:9
	v_perm_b32 v26, v49, v47, s14
	v_perm_b32 v27, v50, v48, s14
	v_pack_b32_f16 v25, v25, v34
	ds_write2_b32 v35, v27, v26 offset0:10 offset1:11
	ds_write_b32 v35, v25 offset:48
.LBB0_17:
	s_or_b64 exec, exec, s[4:5]
	v_add_u32_e32 v35, 0x600, v39
	s_waitcnt lgkmcnt(0)
	s_barrier
	ds_read2_b32 v[27:28], v35 offset0:6 offset1:201
	v_add_u32_e32 v36, 0xc00, v39
	ds_read2_b32 v[29:30], v36 offset0:12 offset1:207
	v_add_u32_e32 v40, 0x1200, v39
	;; [unrolled: 2-line block ×3, first 2 shown]
	s_waitcnt lgkmcnt(2)
	v_lshrrev_b32_e32 v51, 16, v27
	ds_read2_b32 v[33:34], v41 offset0:24 offset1:219
	v_mul_f16_sdwa v60, v0, v51 dst_sel:DWORD dst_unused:UNUSED_PAD src0_sel:WORD_1 src1_sel:DWORD
	s_waitcnt lgkmcnt(2)
	v_lshrrev_b32_e32 v52, 16, v29
	v_fma_f16 v60, v0, v27, v60
	v_mul_f16_sdwa v27, v0, v27 dst_sel:DWORD dst_unused:UNUSED_PAD src0_sel:WORD_1 src1_sel:DWORD
	v_fma_f16 v0, v0, v51, -v27
	v_mul_f16_sdwa v27, v1, v52 dst_sel:DWORD dst_unused:UNUSED_PAD src0_sel:WORD_1 src1_sel:DWORD
	s_waitcnt lgkmcnt(1)
	v_lshrrev_b32_e32 v53, 16, v31
	v_fma_f16 v27, v1, v29, v27
	v_mul_f16_sdwa v29, v1, v29 dst_sel:DWORD dst_unused:UNUSED_PAD src0_sel:WORD_1 src1_sel:DWORD
	v_fma_f16 v1, v1, v52, -v29
	;; [unrolled: 6-line block ×3, first 2 shown]
	v_mul_f16_sdwa v31, v3, v54 dst_sel:DWORD dst_unused:UNUSED_PAD src0_sel:WORD_1 src1_sel:DWORD
	v_lshrrev_b32_e32 v56, 16, v28
	v_fma_f16 v31, v3, v33, v31
	v_mul_f16_sdwa v33, v3, v33 dst_sel:DWORD dst_unused:UNUSED_PAD src0_sel:WORD_1 src1_sel:DWORD
	ds_read2_b32 v[25:26], v39 offset1:195
	v_fma_f16 v3, v3, v54, -v33
	v_mul_f16_sdwa v33, v4, v56 dst_sel:DWORD dst_unused:UNUSED_PAD src0_sel:WORD_1 src1_sel:DWORD
	v_lshrrev_b32_e32 v57, 16, v30
	v_fma_f16 v33, v4, v28, v33
	v_mul_f16_sdwa v28, v4, v28 dst_sel:DWORD dst_unused:UNUSED_PAD src0_sel:WORD_1 src1_sel:DWORD
	v_fma_f16 v4, v4, v56, -v28
	v_mul_f16_sdwa v28, v5, v57 dst_sel:DWORD dst_unused:UNUSED_PAD src0_sel:WORD_1 src1_sel:DWORD
	v_lshrrev_b32_e32 v58, 16, v32
	v_fma_f16 v28, v5, v30, v28
	v_mul_f16_sdwa v30, v5, v30 dst_sel:DWORD dst_unused:UNUSED_PAD src0_sel:WORD_1 src1_sel:DWORD
	v_fma_f16 v5, v5, v57, -v30
	v_mul_f16_sdwa v30, v6, v58 dst_sel:DWORD dst_unused:UNUSED_PAD src0_sel:WORD_1 src1_sel:DWORD
	v_add_f16_e32 v51, v27, v29
	v_lshrrev_b32_e32 v59, 16, v34
	v_fma_f16 v30, v6, v32, v30
	v_mul_f16_sdwa v32, v6, v32 dst_sel:DWORD dst_unused:UNUSED_PAD src0_sel:WORD_1 src1_sel:DWORD
	s_waitcnt lgkmcnt(0)
	v_fma_f16 v51, v51, -0.5, v25
	v_sub_f16_e32 v52, v0, v3
	s_mov_b32 s16, 0xbb9c
	s_movk_i32 s5, 0x3b9c
	v_fma_f16 v6, v6, v58, -v32
	v_mul_f16_sdwa v32, v7, v59 dst_sel:DWORD dst_unused:UNUSED_PAD src0_sel:WORD_1 src1_sel:DWORD
	v_fma_f16 v53, v52, s16, v51
	v_sub_f16_e32 v54, v1, v2
	s_mov_b32 s15, 0xb8b4
	v_sub_f16_e32 v56, v60, v27
	v_sub_f16_e32 v57, v31, v29
	v_fma_f16 v51, v52, s5, v51
	s_movk_i32 s4, 0x38b4
	v_fma_f16 v32, v7, v34, v32
	v_mul_f16_sdwa v34, v7, v34 dst_sel:DWORD dst_unused:UNUSED_PAD src0_sel:WORD_1 src1_sel:DWORD
	v_fma_f16 v53, v54, s15, v53
	v_add_f16_e32 v56, v56, v57
	s_movk_i32 s14, 0x34f2
	v_fma_f16 v51, v54, s4, v51
	v_fma_f16 v7, v7, v59, -v34
	v_add_f16_e32 v34, v25, v60
	v_fma_f16 v53, v56, s14, v53
	v_fma_f16 v51, v56, s14, v51
	v_add_f16_e32 v56, v60, v31
	v_lshrrev_b32_e32 v42, 16, v25
	v_add_f16_e32 v34, v34, v27
	v_fma_f16 v25, v56, -0.5, v25
	v_add_f16_e32 v34, v34, v29
	v_fma_f16 v56, v54, s5, v25
	v_sub_f16_e32 v57, v27, v60
	v_sub_f16_e32 v58, v29, v31
	v_fma_f16 v25, v54, s16, v25
	v_add_f16_e32 v54, v1, v2
	v_add_f16_e32 v34, v34, v31
	v_fma_f16 v56, v52, s15, v56
	v_add_f16_e32 v57, v57, v58
	v_fma_f16 v25, v52, s4, v25
	v_fma_f16 v54, v54, -0.5, v42
	v_sub_f16_e32 v31, v60, v31
	v_fma_f16 v56, v57, s14, v56
	v_fma_f16 v25, v57, s14, v25
	;; [unrolled: 1-line block ×3, first 2 shown]
	v_sub_f16_e32 v27, v27, v29
	v_fma_f16 v29, v27, s4, v57
	v_sub_f16_e32 v57, v0, v1
	v_sub_f16_e32 v58, v3, v2
	v_fma_f16 v54, v31, s16, v54
	v_add_f16_e32 v52, v42, v0
	v_add_f16_e32 v57, v57, v58
	v_fma_f16 v54, v27, s15, v54
	v_add_f16_e32 v52, v52, v1
	v_fma_f16 v29, v57, s14, v29
	v_fma_f16 v54, v57, s14, v54
	v_add_f16_e32 v57, v0, v3
	v_add_f16_e32 v52, v52, v2
	v_fma_f16 v42, v57, -0.5, v42
	v_add_f16_e32 v52, v52, v3
	v_fma_f16 v57, v27, s16, v42
	v_sub_f16_e32 v0, v1, v0
	v_sub_f16_e32 v1, v2, v3
	v_add_f16_e32 v3, v28, v30
	v_fma_f16 v57, v31, s4, v57
	v_add_f16_e32 v0, v0, v1
	v_fma_f16 v2, v27, s5, v42
	v_fma_f16 v3, v3, -0.5, v26
	v_sub_f16_e32 v27, v4, v7
	v_fma_f16 v1, v0, s14, v57
	v_fma_f16 v2, v31, s15, v2
	v_fma_f16 v31, v27, s16, v3
	v_sub_f16_e32 v42, v5, v6
	v_sub_f16_e32 v57, v33, v28
	;; [unrolled: 1-line block ×3, first 2 shown]
	v_fma_f16 v3, v27, s5, v3
	v_fma_f16 v31, v42, s15, v31
	v_add_f16_e32 v57, v57, v58
	v_fma_f16 v3, v42, s4, v3
	v_fma_f16 v0, v0, s14, v2
	v_add_f16_e32 v2, v26, v33
	;; [unrolled: 3-line block ×3, first 2 shown]
	v_lshrrev_b32_e32 v55, 16, v26
	v_add_f16_e32 v2, v2, v28
	v_fma_f16 v26, v57, -0.5, v26
	v_add_f16_e32 v2, v2, v30
	v_fma_f16 v57, v42, s5, v26
	v_fma_f16 v26, v42, s16, v26
	v_add_f16_e32 v42, v5, v6
	v_add_f16_e32 v2, v2, v32
	v_sub_f16_e32 v58, v28, v33
	v_sub_f16_e32 v59, v30, v32
	v_fma_f16 v42, v42, -0.5, v55
	v_sub_f16_e32 v32, v33, v32
	v_fma_f16 v57, v27, s15, v57
	v_add_f16_e32 v58, v58, v59
	v_fma_f16 v26, v27, s4, v26
	v_fma_f16 v33, v32, s5, v42
	v_sub_f16_e32 v28, v28, v30
	v_fma_f16 v57, v58, s14, v57
	v_fma_f16 v26, v58, s14, v26
	;; [unrolled: 1-line block ×3, first 2 shown]
	v_sub_f16_e32 v33, v4, v5
	v_sub_f16_e32 v58, v7, v6
	v_fma_f16 v42, v32, s16, v42
	v_add_f16_e32 v33, v33, v58
	v_fma_f16 v42, v28, s15, v42
	v_add_f16_e32 v27, v55, v4
	v_fma_f16 v30, v33, s14, v30
	v_fma_f16 v33, v33, s14, v42
	v_add_f16_e32 v42, v4, v7
	v_add_f16_e32 v27, v27, v5
	v_fma_f16 v42, v42, -0.5, v55
	v_add_f16_e32 v27, v27, v6
	v_fma_f16 v55, v28, s16, v42
	v_sub_f16_e32 v4, v5, v4
	v_sub_f16_e32 v5, v6, v7
	v_fma_f16 v6, v28, s5, v42
	v_pack_b32_f16 v1, v56, v1
	v_pack_b32_f16 v0, v25, v0
	v_add_f16_e32 v27, v27, v7
	v_fma_f16 v55, v32, s4, v55
	v_add_f16_e32 v4, v4, v5
	v_fma_f16 v6, v32, s15, v6
	s_barrier
	ds_write2_b32 v43, v1, v0 offset0:26 offset1:39
	v_pack_b32_f16 v0, v51, v54
	v_fma_f16 v5, v4, s14, v55
	v_fma_f16 v4, v4, s14, v6
	v_pack_b32_f16 v6, v34, v52
	v_pack_b32_f16 v7, v53, v29
	ds_write_b32 v43, v0 offset:208
	v_pack_b32_f16 v0, v2, v27
	v_pack_b32_f16 v1, v31, v30
	ds_write2_b32 v43, v6, v7 offset1:13
	ds_write2_b32 v44, v0, v1 offset1:13
	v_pack_b32_f16 v0, v57, v5
	v_pack_b32_f16 v1, v26, v4
	ds_write2_b32 v44, v0, v1 offset0:26 offset1:39
	v_pack_b32_f16 v0, v3, v33
	ds_write_b32 v44, v0 offset:208
	s_waitcnt lgkmcnt(0)
	s_barrier
	ds_read2_b32 v[0:1], v39 offset1:195
	ds_read2_b32 v[2:3], v35 offset0:6 offset1:201
	ds_read2_b32 v[4:5], v36 offset0:12 offset1:207
	;; [unrolled: 1-line block ×4, first 2 shown]
	s_waitcnt lgkmcnt(4)
	v_lshrrev_b32_e32 v28, 16, v1
	v_mul_f16_sdwa v40, v8, v28 dst_sel:DWORD dst_unused:UNUSED_PAD src0_sel:WORD_1 src1_sel:DWORD
	s_waitcnt lgkmcnt(3)
	v_lshrrev_b32_e32 v29, 16, v2
	v_fma_f16 v40, v8, v1, v40
	v_mul_f16_sdwa v1, v8, v1 dst_sel:DWORD dst_unused:UNUSED_PAD src0_sel:WORD_1 src1_sel:DWORD
	v_fma_f16 v1, v8, v28, -v1
	v_mul_f16_sdwa v8, v9, v29 dst_sel:DWORD dst_unused:UNUSED_PAD src0_sel:WORD_1 src1_sel:DWORD
	v_lshrrev_b32_e32 v30, 16, v3
	v_fma_f16 v8, v9, v2, v8
	v_mul_f16_sdwa v2, v9, v2 dst_sel:DWORD dst_unused:UNUSED_PAD src0_sel:WORD_1 src1_sel:DWORD
	v_fma_f16 v2, v9, v29, -v2
	v_mul_f16_sdwa v9, v10, v30 dst_sel:DWORD dst_unused:UNUSED_PAD src0_sel:WORD_1 src1_sel:DWORD
	s_waitcnt lgkmcnt(2)
	v_lshrrev_b32_e32 v31, 16, v4
	v_fma_f16 v9, v10, v3, v9
	v_mul_f16_sdwa v3, v10, v3 dst_sel:DWORD dst_unused:UNUSED_PAD src0_sel:WORD_1 src1_sel:DWORD
	v_fma_f16 v3, v10, v30, -v3
	v_mul_f16_sdwa v10, v11, v31 dst_sel:DWORD dst_unused:UNUSED_PAD src0_sel:WORD_1 src1_sel:DWORD
	v_lshrrev_b32_e32 v32, 16, v5
	v_fma_f16 v10, v11, v4, v10
	v_mul_f16_sdwa v4, v11, v4 dst_sel:DWORD dst_unused:UNUSED_PAD src0_sel:WORD_1 src1_sel:DWORD
	v_fma_f16 v4, v11, v31, -v4
	;; [unrolled: 11-line block ×3, first 2 shown]
	v_mul_f16_sdwa v13, v14, v34 dst_sel:DWORD dst_unused:UNUSED_PAD src0_sel:WORD_1 src1_sel:DWORD
	s_waitcnt lgkmcnt(0)
	v_lshrrev_b32_e32 v35, 16, v25
	v_fma_f16 v13, v14, v7, v13
	v_mul_f16_sdwa v7, v14, v7 dst_sel:DWORD dst_unused:UNUSED_PAD src0_sel:WORD_1 src1_sel:DWORD
	v_fma_f16 v7, v14, v34, -v7
	v_mul_f16_sdwa v14, v15, v35 dst_sel:DWORD dst_unused:UNUSED_PAD src0_sel:WORD_1 src1_sel:DWORD
	v_fma_f16 v14, v15, v25, v14
	v_mul_f16_sdwa v25, v15, v25 dst_sel:DWORD dst_unused:UNUSED_PAD src0_sel:WORD_1 src1_sel:DWORD
	v_fma_f16 v15, v15, v35, -v25
	v_add_f16_e32 v29, v10, v12
	v_fma_f16 v29, v29, -0.5, v0
	v_sub_f16_e32 v30, v2, v15
	v_fma_f16 v31, v30, s16, v29
	v_sub_f16_e32 v32, v4, v6
	v_sub_f16_e32 v33, v8, v10
	;; [unrolled: 1-line block ×3, first 2 shown]
	v_fma_f16 v29, v30, s5, v29
	v_fma_f16 v31, v32, s15, v31
	v_add_f16_e32 v33, v33, v34
	v_fma_f16 v29, v32, s4, v29
	v_fma_f16 v31, v33, s14, v31
	;; [unrolled: 1-line block ×3, first 2 shown]
	v_add_f16_e32 v33, v8, v14
	v_lshrrev_b32_e32 v27, 16, v0
	v_add_f16_e32 v28, v0, v8
	v_fma_f16 v0, v33, -0.5, v0
	v_add_f16_e32 v28, v28, v10
	v_fma_f16 v33, v32, s5, v0
	v_fma_f16 v0, v32, s16, v0
	v_add_f16_e32 v32, v4, v6
	v_add_f16_e32 v28, v28, v12
	v_sub_f16_e32 v34, v10, v8
	v_sub_f16_e32 v35, v12, v14
	v_fma_f16 v32, v32, -0.5, v27
	v_sub_f16_e32 v8, v8, v14
	v_add_f16_e32 v28, v28, v14
	v_fma_f16 v33, v30, s15, v33
	v_add_f16_e32 v34, v34, v35
	v_fma_f16 v0, v30, s4, v0
	v_fma_f16 v14, v8, s5, v32
	v_sub_f16_e32 v10, v10, v12
	v_fma_f16 v33, v34, s14, v33
	v_fma_f16 v0, v34, s14, v0
	;; [unrolled: 1-line block ×3, first 2 shown]
	v_sub_f16_e32 v14, v2, v4
	v_sub_f16_e32 v34, v15, v6
	v_fma_f16 v32, v8, s16, v32
	v_add_f16_e32 v14, v14, v34
	v_fma_f16 v32, v10, s15, v32
	v_lshrrev_b32_e32 v36, 16, v26
	v_add_f16_e32 v30, v27, v2
	v_fma_f16 v12, v14, s14, v12
	v_fma_f16 v14, v14, s14, v32
	v_add_f16_e32 v32, v2, v15
	v_mul_f16_sdwa v25, v45, v36 dst_sel:DWORD dst_unused:UNUSED_PAD src0_sel:WORD_1 src1_sel:DWORD
	v_add_f16_e32 v30, v30, v4
	v_fma_f16 v27, v32, -0.5, v27
	v_fma_f16 v25, v45, v26, v25
	v_mul_f16_sdwa v26, v45, v26 dst_sel:DWORD dst_unused:UNUSED_PAD src0_sel:WORD_1 src1_sel:DWORD
	v_add_f16_e32 v30, v30, v6
	v_fma_f16 v32, v10, s16, v27
	v_sub_f16_e32 v2, v4, v2
	v_sub_f16_e32 v4, v6, v15
	v_fma_f16 v6, v10, s5, v27
	v_fma_f16 v26, v45, v36, -v26
	v_fma_f16 v32, v8, s4, v32
	v_fma_f16 v6, v8, s15, v6
	v_add_f16_e32 v8, v11, v13
	v_add_f16_e32 v2, v2, v4
	v_fma_f16 v8, v8, -0.5, v40
	v_sub_f16_e32 v10, v3, v26
	v_add_f16_e32 v30, v30, v15
	v_fma_f16 v4, v2, s14, v32
	v_fma_f16 v15, v10, s16, v8
	v_sub_f16_e32 v27, v5, v7
	v_sub_f16_e32 v32, v9, v11
	;; [unrolled: 1-line block ×3, first 2 shown]
	v_fma_f16 v8, v10, s5, v8
	v_fma_f16 v15, v27, s15, v15
	v_add_f16_e32 v32, v32, v34
	v_fma_f16 v8, v27, s4, v8
	v_fma_f16 v15, v32, s14, v15
	;; [unrolled: 1-line block ×3, first 2 shown]
	v_add_f16_e32 v32, v9, v25
	v_fma_f16 v2, v2, s14, v6
	v_add_f16_e32 v6, v40, v9
	v_fma_f16 v32, v32, -0.5, v40
	v_add_f16_e32 v6, v6, v11
	v_fma_f16 v34, v27, s5, v32
	v_fma_f16 v27, v27, s16, v32
	v_add_f16_e32 v32, v5, v7
	v_add_f16_e32 v6, v6, v13
	v_sub_f16_e32 v35, v11, v9
	v_sub_f16_e32 v36, v13, v25
	v_fma_f16 v32, v32, -0.5, v1
	v_sub_f16_e32 v9, v9, v25
	v_add_f16_e32 v6, v6, v25
	v_fma_f16 v34, v10, s15, v34
	v_add_f16_e32 v35, v35, v36
	v_fma_f16 v10, v10, s4, v27
	v_fma_f16 v25, v9, s5, v32
	v_sub_f16_e32 v11, v11, v13
	v_fma_f16 v34, v35, s14, v34
	v_fma_f16 v10, v35, s14, v10
	;; [unrolled: 1-line block ×3, first 2 shown]
	v_sub_f16_e32 v25, v3, v5
	v_sub_f16_e32 v35, v26, v7
	v_fma_f16 v32, v9, s16, v32
	v_add_f16_e32 v25, v25, v35
	v_fma_f16 v32, v11, s15, v32
	v_fma_f16 v13, v25, s14, v13
	;; [unrolled: 1-line block ×3, first 2 shown]
	v_add_f16_e32 v32, v3, v26
	v_add_f16_e32 v27, v1, v3
	v_fma_f16 v1, v32, -0.5, v1
	v_add_f16_e32 v27, v27, v5
	v_fma_f16 v32, v11, s16, v1
	v_sub_f16_e32 v3, v5, v3
	v_sub_f16_e32 v5, v7, v26
	v_fma_f16 v32, v9, s4, v32
	v_add_f16_e32 v3, v3, v5
	v_fma_f16 v1, v11, s5, v1
	v_fma_f16 v5, v3, s14, v32
	;; [unrolled: 1-line block ×3, first 2 shown]
	v_add_f16_e32 v27, v27, v7
	v_fma_f16 v1, v3, s14, v1
	v_mul_f16_e32 v7, 0xb8b4, v13
	s_movk_i32 s15, 0x3a79
	v_mul_f16_e32 v11, 0xbb9c, v5
	v_mul_f16_e32 v13, 0x3a79, v13
	v_add_f16_e32 v27, v27, v26
	v_fma_f16 v7, v15, s15, v7
	v_fma_f16 v11, v34, s14, v11
	v_mul_f16_e32 v32, 0xbb9c, v1
	s_mov_b32 s14, 0xb4f2
	v_fma_f16 v13, v15, s4, v13
	v_mul_f16_e32 v5, 0x34f2, v5
	v_mul_f16_e32 v1, 0xb4f2, v1
	v_add_f16_e32 v3, v28, v6
	v_add_f16_e32 v9, v31, v7
	v_fma_f16 v32, v10, s14, v32
	v_mul_f16_e32 v36, 0xb8b4, v25
	s_mov_b32 s14, 0xba79
	v_add_f16_e32 v41, v30, v27
	v_add_f16_e32 v15, v12, v13
	v_fma_f16 v5, v34, s5, v5
	v_fma_f16 v1, v10, s5, v1
	v_mul_f16_e32 v25, 0xba79, v25
	v_add_f16_e32 v26, v33, v11
	v_add_f16_e32 v35, v0, v32
	v_fma_f16 v36, v8, s14, v36
	v_add_f16_e32 v34, v4, v5
	v_add_f16_e32 v10, v2, v1
	v_fma_f16 v8, v8, s4, v25
	v_sub_f16_e32 v1, v2, v1
	v_pack_b32_f16 v2, v3, v41
	v_pack_b32_f16 v3, v9, v15
	v_add_f16_e32 v40, v29, v36
	v_add_f16_e32 v25, v14, v8
	v_sub_f16_e32 v28, v28, v6
	v_sub_f16_e32 v27, v30, v27
	s_barrier
	ds_write2_b32 v46, v2, v3 offset1:65
	v_pack_b32_f16 v2, v26, v34
	v_pack_b32_f16 v3, v35, v10
	v_sub_f16_e32 v31, v31, v7
	v_sub_f16_e32 v11, v33, v11
	;; [unrolled: 1-line block ×4, first 2 shown]
	ds_write2_b32 v46, v2, v3 offset0:130 offset1:195
	v_pack_b32_f16 v2, v40, v25
	v_pack_b32_f16 v3, v28, v27
	v_add_u32_e32 v5, 0x400, v46
	v_sub_f16_e32 v0, v0, v32
	v_sub_f16_e32 v6, v29, v36
	;; [unrolled: 1-line block ×3, first 2 shown]
	ds_write2_b32 v5, v2, v3 offset0:4 offset1:69
	v_pack_b32_f16 v2, v31, v12
	v_pack_b32_f16 v3, v11, v4
	ds_write2_b32 v5, v2, v3 offset0:134 offset1:199
	v_pack_b32_f16 v0, v0, v1
	v_pack_b32_f16 v1, v6, v7
	v_add_u32_e32 v2, 0x800, v46
	v_add_u32_e32 v8, 0xa00, v39
	;; [unrolled: 1-line block ×3, first 2 shown]
	ds_write2_b32 v2, v0, v1 offset0:8 offset1:73
	s_waitcnt lgkmcnt(0)
	s_barrier
	ds_read2_b32 v[0:1], v39 offset1:195
	ds_read2_b32 v[2:3], v8 offset0:10 offset1:205
	ds_read2_b32 v[4:5], v9 offset0:20 offset1:215
	ds_read_b32 v10, v39 offset:1560
	ds_read_b32 v12, v39 offset:4160
	;; [unrolled: 1-line block ×3, first 2 shown]
	s_and_saveexec_b64 s[4:5], s[2:3]
	s_cbranch_execz .LBB0_19
; %bb.18:
	ds_read_b32 v6, v39 offset:2340
	ds_read_b32 v48, v39 offset:4940
	;; [unrolled: 1-line block ×3, first 2 shown]
	s_waitcnt lgkmcnt(2)
	v_lshrrev_b32_e32 v7, 16, v6
	s_waitcnt lgkmcnt(1)
	v_lshrrev_b32_e32 v50, 16, v48
	;; [unrolled: 2-line block ×3, first 2 shown]
.LBB0_19:
	s_or_b64 exec, exec, s[4:5]
	s_waitcnt lgkmcnt(4)
	v_lshrrev_b32_e32 v14, 16, v2
	v_mul_f16_sdwa v31, v19, v14 dst_sel:DWORD dst_unused:UNUSED_PAD src0_sel:WORD_1 src1_sel:DWORD
	s_waitcnt lgkmcnt(3)
	v_lshrrev_b32_e32 v15, 16, v4
	v_fma_f16 v31, v19, v2, v31
	v_mul_f16_sdwa v2, v19, v2 dst_sel:DWORD dst_unused:UNUSED_PAD src0_sel:WORD_1 src1_sel:DWORD
	v_fma_f16 v2, v19, v14, -v2
	v_mul_f16_sdwa v14, v20, v15 dst_sel:DWORD dst_unused:UNUSED_PAD src0_sel:WORD_1 src1_sel:DWORD
	v_lshrrev_b32_e32 v26, 16, v3
	s_waitcnt lgkmcnt(1)
	v_lshrrev_b32_e32 v29, 16, v12
	v_fma_f16 v14, v20, v4, v14
	v_mul_f16_sdwa v4, v20, v4 dst_sel:DWORD dst_unused:UNUSED_PAD src0_sel:WORD_1 src1_sel:DWORD
	v_lshrrev_b32_e32 v27, 16, v5
	v_fma_f16 v4, v20, v15, -v4
	v_mul_f16_sdwa v15, v21, v26 dst_sel:DWORD dst_unused:UNUSED_PAD src0_sel:WORD_1 src1_sel:DWORD
	v_mul_f16_sdwa v20, v23, v29 dst_sel:DWORD dst_unused:UNUSED_PAD src0_sel:WORD_1 src1_sel:DWORD
	s_waitcnt lgkmcnt(0)
	v_lshrrev_b32_e32 v30, 16, v11
	v_fma_f16 v15, v21, v3, v15
	v_mul_f16_sdwa v3, v21, v3 dst_sel:DWORD dst_unused:UNUSED_PAD src0_sel:WORD_1 src1_sel:DWORD
	v_mul_f16_sdwa v19, v22, v27 dst_sel:DWORD dst_unused:UNUSED_PAD src0_sel:WORD_1 src1_sel:DWORD
	v_fma_f16 v20, v23, v12, v20
	v_mul_f16_sdwa v12, v23, v12 dst_sel:DWORD dst_unused:UNUSED_PAD src0_sel:WORD_1 src1_sel:DWORD
	v_fma_f16 v3, v21, v26, -v3
	v_fma_f16 v19, v22, v5, v19
	v_mul_f16_sdwa v5, v22, v5 dst_sel:DWORD dst_unused:UNUSED_PAD src0_sel:WORD_1 src1_sel:DWORD
	v_fma_f16 v12, v23, v29, -v12
	v_mul_f16_sdwa v21, v24, v30 dst_sel:DWORD dst_unused:UNUSED_PAD src0_sel:WORD_1 src1_sel:DWORD
	v_add_f16_e32 v23, v31, v14
	v_lshrrev_b32_e32 v13, 16, v0
	v_fma_f16 v5, v22, v27, -v5
	v_fma_f16 v21, v24, v11, v21
	v_mul_f16_sdwa v11, v24, v11 dst_sel:DWORD dst_unused:UNUSED_PAD src0_sel:WORD_1 src1_sel:DWORD
	v_add_f16_e32 v22, v0, v31
	v_fma_f16 v0, v23, -0.5, v0
	v_sub_f16_e32 v23, v2, v4
	s_mov_b32 s14, 0xbaee
	s_movk_i32 s15, 0x3aee
	v_fma_f16 v11, v24, v30, -v11
	v_fma_f16 v24, v23, s14, v0
	v_fma_f16 v0, v23, s15, v0
	v_add_f16_e32 v23, v13, v2
	v_add_f16_e32 v2, v2, v4
	v_add_f16_e32 v22, v22, v14
	v_add_f16_e32 v23, v23, v4
	v_fma_f16 v2, v2, -0.5, v13
	v_sub_f16_e32 v4, v31, v14
	v_add_f16_e32 v14, v15, v19
	v_lshrrev_b32_e32 v25, 16, v1
	v_fma_f16 v13, v4, s15, v2
	v_fma_f16 v2, v4, s14, v2
	v_add_f16_e32 v4, v1, v15
	v_fma_f16 v1, v14, -0.5, v1
	v_sub_f16_e32 v14, v3, v5
	v_fma_f16 v26, v14, s14, v1
	v_fma_f16 v1, v14, s15, v1
	v_add_f16_e32 v14, v25, v3
	v_add_f16_e32 v3, v3, v5
	;; [unrolled: 1-line block ×4, first 2 shown]
	v_fma_f16 v3, v3, -0.5, v25
	v_sub_f16_e32 v5, v15, v19
	v_add_f16_e32 v19, v20, v21
	v_lshrrev_b32_e32 v28, 16, v10
	v_fma_f16 v15, v5, s15, v3
	v_fma_f16 v3, v5, s14, v3
	v_add_f16_e32 v5, v10, v20
	v_fma_f16 v10, v19, -0.5, v10
	v_sub_f16_e32 v19, v12, v11
	v_fma_f16 v25, v19, s14, v10
	v_fma_f16 v10, v19, s15, v10
	v_add_f16_e32 v19, v28, v12
	v_add_f16_e32 v19, v19, v11
	;; [unrolled: 1-line block ×4, first 2 shown]
	v_fma_f16 v11, v11, -0.5, v28
	v_sub_f16_e32 v12, v20, v21
	v_pack_b32_f16 v0, v0, v2
	v_pack_b32_f16 v1, v1, v3
	v_fma_f16 v20, v12, s15, v11
	ds_write2_b32 v9, v0, v1 offset0:20 offset1:215
	v_pack_b32_f16 v0, v5, v19
	v_fma_f16 v11, v12, s14, v11
	v_pack_b32_f16 v12, v22, v23
	v_pack_b32_f16 v2, v4, v14
	ds_write_b32 v39, v0 offset:1560
	v_pack_b32_f16 v0, v25, v20
	v_pack_b32_f16 v13, v24, v13
	ds_write2_b32 v39, v12, v2 offset1:195
	v_pack_b32_f16 v2, v26, v15
	ds_write_b32 v39, v0 offset:4160
	v_pack_b32_f16 v0, v10, v11
	ds_write2_b32 v8, v13, v2 offset0:10 offset1:205
	ds_write_b32 v39, v0 offset:6760
	s_and_saveexec_b64 s[4:5], s[2:3]
	s_cbranch_execz .LBB0_21
; %bb.20:
	v_mul_f16_sdwa v0, v17, v48 dst_sel:DWORD dst_unused:UNUSED_PAD src0_sel:WORD_1 src1_sel:DWORD
	v_mul_f16_sdwa v1, v18, v47 dst_sel:DWORD dst_unused:UNUSED_PAD src0_sel:WORD_1 src1_sel:DWORD
	v_fma_f16 v0, v17, v50, -v0
	v_fma_f16 v1, v18, v49, -v1
	v_mul_f16_sdwa v3, v17, v50 dst_sel:DWORD dst_unused:UNUSED_PAD src0_sel:WORD_1 src1_sel:DWORD
	v_mul_f16_sdwa v4, v18, v49 dst_sel:DWORD dst_unused:UNUSED_PAD src0_sel:WORD_1 src1_sel:DWORD
	v_add_f16_e32 v2, v0, v1
	v_fma_f16 v3, v17, v48, v3
	v_fma_f16 v4, v18, v47, v4
	v_fma_f16 v2, v2, -0.5, v7
	v_sub_f16_e32 v5, v3, v4
	v_fma_f16 v8, v5, s14, v2
	v_fma_f16 v2, v5, s15, v2
	v_add_f16_e32 v5, v7, v0
	v_add_f16_e32 v7, v3, v4
	v_fma_f16 v7, v7, -0.5, v6
	v_sub_f16_e32 v0, v0, v1
	v_add_f16_e32 v5, v5, v1
	v_fma_f16 v1, v0, s15, v7
	v_fma_f16 v0, v0, s14, v7
	v_add_f16_e32 v3, v6, v3
	v_add_f16_e32 v3, v3, v4
	v_pack_b32_f16 v0, v0, v2
	v_pack_b32_f16 v3, v3, v5
	ds_write_b32 v39, v0 offset:4940
	v_pack_b32_f16 v0, v1, v8
	ds_write_b32 v39, v3 offset:2340
	ds_write_b32 v39, v0 offset:7540
.LBB0_21:
	s_or_b64 exec, exec, s[4:5]
	s_waitcnt lgkmcnt(0)
	s_barrier
	s_and_b64 exec, exec, s[0:1]
	s_cbranch_execz .LBB0_23
; %bb.22:
	global_load_dword v7, v37, s[6:7]
	ds_read_b32 v8, v39
	global_load_dword v5, v37, s[6:7] offset:600
	global_load_dword v6, v37, s[6:7] offset:1200
	v_mad_u64_u32 v[2:3], s[0:1], s10, v16, 0
	s_mov_b32 s14, 0xaa677344
	s_waitcnt lgkmcnt(0)
	v_lshrrev_b32_e32 v14, 16, v8
	v_mov_b32_e32 v0, s7
	s_mov_b32 s15, 0x3f40cdd9
	v_add_co_u32_e32 v1, vcc, s6, v37
	s_movk_i32 s0, 0x1000
	v_mov_b32_e32 v4, 0x7c00
	v_addc_co_u32_e32 v9, vcc, 0, v0, vcc
	v_add_co_u32_e32 v0, vcc, s0, v1
	v_mad_u64_u32 v[19:20], s[0:1], s11, v16, v[3:4]
	s_movk_i32 s10, 0x1ff
	v_addc_co_u32_e32 v1, vcc, 0, v9, vcc
	v_add_u32_e32 v3, 0x200, v37
	s_movk_i32 s16, 0xffe
	global_load_dword v9, v[0:1], off offset:104
	global_load_dword v11, v[0:1], off offset:704
	;; [unrolled: 1-line block ×5, first 2 shown]
	ds_read2_b32 v[20:21], v3 offset0:22 offset1:172
	v_mov_b32_e32 v3, v19
	s_movk_i32 s17, 0x40f
	s_mov_b32 s18, 0x8000
	v_lshlrev_b64 v[2:3], 2, v[2:3]
	s_waitcnt vmcnt(7)
	v_mul_f16_sdwa v15, v14, v7 dst_sel:DWORD dst_unused:UNUSED_PAD src0_sel:DWORD src1_sel:WORD_1
	v_fma_f16 v15, v8, v7, v15
	v_mul_f16_sdwa v8, v8, v7 dst_sel:DWORD dst_unused:UNUSED_PAD src0_sel:DWORD src1_sel:WORD_1
	v_cvt_f32_f16_e32 v15, v15
	v_fma_f16 v7, v7, v14, -v8
	v_cvt_f32_f16_e32 v17, v7
	v_cvt_f64_f32_e32 v[7:8], v15
	v_mad_u64_u32 v[14:15], s[0:1], s8, v38, 0
	v_cvt_f64_f32_e32 v[17:18], v17
	v_mul_f64 v[7:8], v[7:8], s[14:15]
	v_mul_f64 v[16:17], v[17:18], s[14:15]
	v_and_or_b32 v7, v8, s10, v7
	v_cmp_ne_u32_e32 vcc, 0, v7
	v_lshrrev_b32_e32 v18, 8, v8
	v_and_or_b32 v16, v17, s10, v16
	v_bfe_u32 v19, v8, 20, 11
	v_cndmask_b32_e64 v7, 0, 1, vcc
	v_cmp_ne_u32_e32 vcc, 0, v16
	v_lshrrev_b32_e32 v22, 8, v17
	v_bfe_u32 v23, v17, 20, 11
	v_sub_u32_e32 v24, 0x3f1, v19
	v_cndmask_b32_e64 v16, 0, 1, vcc
	v_and_or_b32 v7, v18, s16, v7
	v_sub_u32_e32 v25, 0x3f1, v23
	v_med3_i32 v18, v24, 0, 13
	v_and_or_b32 v16, v22, s16, v16
	v_or_b32_e32 v24, 0x1000, v7
	v_add_u32_e32 v19, 0xfffffc10, v19
	v_med3_i32 v22, v25, 0, 13
	v_cmp_ne_u32_e32 vcc, 0, v7
	v_or_b32_e32 v26, 0x1000, v16
	v_lshrrev_b32_e32 v28, v18, v24
	v_add_u32_e32 v23, 0xfffffc10, v23
	v_lshl_or_b32 v25, v19, 12, v7
	v_cndmask_b32_e64 v7, 0, 1, vcc
	v_cmp_ne_u32_e32 vcc, 0, v16
	v_lshrrev_b32_e32 v29, v22, v26
	v_lshlrev_b32_e32 v18, v18, v28
	v_lshl_or_b32 v27, v23, 12, v16
	v_cndmask_b32_e64 v16, 0, 1, vcc
	v_lshlrev_b32_e32 v22, v22, v29
	v_cmp_ne_u32_e32 vcc, v18, v24
	v_cndmask_b32_e64 v18, 0, 1, vcc
	v_cmp_ne_u32_e32 vcc, v22, v26
	v_cndmask_b32_e64 v22, 0, 1, vcc
	v_or_b32_e32 v18, v28, v18
	v_cmp_gt_i32_e32 vcc, 1, v19
	v_cndmask_b32_e32 v18, v25, v18, vcc
	v_or_b32_e32 v22, v29, v22
	v_cmp_gt_i32_e32 vcc, 1, v23
	v_and_b32_e32 v24, 7, v18
	v_cndmask_b32_e32 v22, v27, v22, vcc
	v_cmp_lt_i32_e32 vcc, 5, v24
	v_cmp_eq_u32_e64 s[0:1], 3, v24
	v_lshrrev_b32_e32 v18, 2, v18
	v_and_b32_e32 v25, 7, v22
	s_or_b64 vcc, s[0:1], vcc
	v_cmp_lt_i32_e64 s[2:3], 5, v25
	v_cmp_eq_u32_e64 s[4:5], 3, v25
	v_addc_co_u32_e32 v18, vcc, 0, v18, vcc
	v_lshrrev_b32_e32 v22, 2, v22
	s_or_b64 vcc, s[4:5], s[2:3]
	v_addc_co_u32_e32 v22, vcc, 0, v22, vcc
	v_cmp_gt_i32_e32 vcc, 31, v19
	v_cndmask_b32_e32 v18, v4, v18, vcc
	v_cmp_gt_i32_e32 vcc, 31, v23
	v_lshl_or_b32 v7, v7, 9, v4
	v_cndmask_b32_e32 v22, v4, v22, vcc
	v_cmp_eq_u32_e32 vcc, s17, v19
	v_lshrrev_b32_e32 v8, 16, v8
	v_cndmask_b32_e32 v7, v18, v7, vcc
	v_and_or_b32 v18, v8, s18, v7
	v_mov_b32_e32 v7, v15
	v_mad_u64_u32 v[7:8], s[0:1], s9, v38, v[7:8]
	s_waitcnt lgkmcnt(0)
	v_lshrrev_b32_e32 v19, 16, v20
	s_waitcnt vmcnt(6)
	v_mul_f16_sdwa v8, v19, v5 dst_sel:DWORD dst_unused:UNUSED_PAD src0_sel:DWORD src1_sel:WORD_1
	v_fma_f16 v8, v20, v5, v8
	v_cvt_f32_f16_e32 v8, v8
	v_mov_b32_e32 v15, v7
	v_lshl_or_b32 v16, v16, 9, v4
	v_cmp_eq_u32_e32 vcc, s17, v23
	v_cvt_f64_f32_e32 v[7:8], v8
	v_cndmask_b32_e32 v16, v22, v16, vcc
	v_lshrrev_b32_e32 v17, 16, v17
	v_and_or_b32 v16, v17, s18, v16
	v_mul_f64 v[7:8], v[7:8], s[14:15]
	v_and_b32_e32 v17, 0xffff, v18
	v_lshl_or_b32 v16, v16, 16, v17
	v_mov_b32_e32 v17, s13
	v_add_co_u32_e32 v18, vcc, s12, v2
	v_addc_co_u32_e32 v17, vcc, v17, v3, vcc
	v_lshlrev_b64 v[2:3], 2, v[14:15]
	v_and_or_b32 v7, v8, s10, v7
	v_add_co_u32_e32 v2, vcc, v18, v2
	v_addc_co_u32_e32 v3, vcc, v17, v3, vcc
	v_cmp_ne_u32_e32 vcc, 0, v7
	v_cndmask_b32_e64 v7, 0, 1, vcc
	v_lshrrev_b32_e32 v14, 8, v8
	v_bfe_u32 v15, v8, 20, 11
	global_store_dword v[2:3], v16, off
	v_and_or_b32 v7, v14, s16, v7
	v_sub_u32_e32 v16, 0x3f1, v15
	v_or_b32_e32 v14, 0x1000, v7
	v_med3_i32 v16, v16, 0, 13
	v_lshrrev_b32_e32 v17, v16, v14
	v_lshlrev_b32_e32 v16, v16, v17
	v_cmp_ne_u32_e32 vcc, v16, v14
	v_cndmask_b32_e64 v14, 0, 1, vcc
	v_or_b32_e32 v14, v17, v14
	v_mul_f16_sdwa v17, v20, v5 dst_sel:DWORD dst_unused:UNUSED_PAD src0_sel:DWORD src1_sel:WORD_1
	v_fma_f16 v5, v5, v19, -v17
	v_add_u32_e32 v16, 0xfffffc10, v15
	v_cvt_f32_f16_e32 v5, v5
	v_lshl_or_b32 v15, v16, 12, v7
	v_cmp_gt_i32_e32 vcc, 1, v16
	v_cndmask_b32_e32 v14, v15, v14, vcc
	v_and_b32_e32 v15, 7, v14
	v_cmp_lt_i32_e32 vcc, 5, v15
	v_cmp_eq_u32_e64 s[0:1], 3, v15
	v_lshrrev_b32_e32 v17, 2, v14
	v_cvt_f64_f32_e32 v[14:15], v5
	s_or_b64 vcc, s[0:1], vcc
	v_addc_co_u32_e32 v5, vcc, 0, v17, vcc
	v_mul_f64 v[14:15], v[14:15], s[14:15]
	v_cmp_gt_i32_e32 vcc, 31, v16
	v_cndmask_b32_e32 v5, v4, v5, vcc
	v_cmp_ne_u32_e32 vcc, 0, v7
	v_cndmask_b32_e64 v7, 0, 1, vcc
	v_lshl_or_b32 v7, v7, 9, v4
	v_cmp_eq_u32_e32 vcc, s17, v16
	v_cndmask_b32_e32 v5, v5, v7, vcc
	v_lshrrev_b32_e32 v7, 16, v8
	v_and_or_b32 v5, v7, s18, v5
	v_and_or_b32 v7, v15, s10, v14
	v_cmp_ne_u32_e32 vcc, 0, v7
	v_cndmask_b32_e64 v7, 0, 1, vcc
	v_lshrrev_b32_e32 v8, 8, v15
	v_bfe_u32 v14, v15, 20, 11
	v_and_or_b32 v7, v8, s16, v7
	v_sub_u32_e32 v16, 0x3f1, v14
	v_or_b32_e32 v8, 0x1000, v7
	v_med3_i32 v16, v16, 0, 13
	v_lshrrev_b32_e32 v17, v16, v8
	v_lshlrev_b32_e32 v16, v16, v17
	v_cmp_ne_u32_e32 vcc, v16, v8
	v_cndmask_b32_e64 v8, 0, 1, vcc
	v_add_u32_e32 v14, 0xfffffc10, v14
	v_or_b32_e32 v8, v17, v8
	v_lshl_or_b32 v16, v14, 12, v7
	v_cmp_gt_i32_e32 vcc, 1, v14
	v_cndmask_b32_e32 v8, v16, v8, vcc
	v_and_b32_e32 v16, 7, v8
	v_cmp_lt_i32_e32 vcc, 5, v16
	v_cmp_eq_u32_e64 s[0:1], 3, v16
	v_lshrrev_b32_e32 v8, 2, v8
	s_or_b64 vcc, s[0:1], vcc
	v_addc_co_u32_e32 v8, vcc, 0, v8, vcc
	v_cmp_gt_i32_e32 vcc, 31, v14
	v_cndmask_b32_e32 v8, v4, v8, vcc
	v_cmp_ne_u32_e32 vcc, 0, v7
	v_cndmask_b32_e64 v7, 0, 1, vcc
	v_lshl_or_b32 v7, v7, 9, v4
	v_cmp_eq_u32_e32 vcc, s17, v14
	v_cndmask_b32_e32 v7, v8, v7, vcc
	v_lshrrev_b32_e32 v8, 16, v15
	v_lshrrev_b32_e32 v14, 16, v21
	v_and_or_b32 v7, v8, s18, v7
	s_waitcnt vmcnt(6)
	v_mul_f16_sdwa v8, v14, v6 dst_sel:DWORD dst_unused:UNUSED_PAD src0_sel:DWORD src1_sel:WORD_1
	v_fma_f16 v8, v21, v6, v8
	v_cvt_f32_f16_e32 v8, v8
	global_load_dword v16, v37, s[6:7] offset:1800
	v_and_b32_e32 v5, 0xffff, v5
	v_lshl_or_b32 v5, v7, 16, v5
	v_cvt_f64_f32_e32 v[7:8], v8
	s_mul_i32 s0, s9, 0x258
	s_mul_hi_u32 s2, s8, 0x258
	s_add_i32 s2, s2, s0
	v_mul_f64 v[7:8], v[7:8], s[14:15]
	s_mul_i32 s3, s8, 0x258
	v_mov_b32_e32 v15, s2
	v_add_co_u32_e32 v2, vcc, s3, v2
	v_addc_co_u32_e32 v3, vcc, v3, v15, vcc
	global_store_dword v[2:3], v5, off
	v_and_or_b32 v5, v8, s10, v7
	v_cmp_ne_u32_e32 vcc, 0, v5
	v_cndmask_b32_e64 v5, 0, 1, vcc
	v_lshrrev_b32_e32 v7, 8, v8
	v_bfe_u32 v15, v8, 20, 11
	v_and_or_b32 v7, v7, s16, v5
	v_sub_u32_e32 v17, 0x3f1, v15
	v_or_b32_e32 v5, 0x1000, v7
	v_med3_i32 v17, v17, 0, 13
	v_lshrrev_b32_e32 v18, v17, v5
	v_lshlrev_b32_e32 v17, v17, v18
	v_cmp_ne_u32_e32 vcc, v17, v5
	v_cndmask_b32_e64 v5, 0, 1, vcc
	v_or_b32_e32 v5, v18, v5
	v_mul_f16_sdwa v18, v21, v6 dst_sel:DWORD dst_unused:UNUSED_PAD src0_sel:DWORD src1_sel:WORD_1
	v_fma_f16 v6, v6, v14, -v18
	v_cvt_f32_f16_e32 v6, v6
	v_add_u32_e32 v15, 0xfffffc10, v15
	v_lshl_or_b32 v17, v15, 12, v7
	v_cmp_gt_i32_e32 vcc, 1, v15
	v_cndmask_b32_e32 v5, v17, v5, vcc
	v_and_b32_e32 v17, 7, v5
	v_lshrrev_b32_e32 v14, 2, v5
	v_cvt_f64_f32_e32 v[5:6], v6
	v_cmp_lt_i32_e32 vcc, 5, v17
	v_cmp_eq_u32_e64 s[0:1], 3, v17
	s_or_b64 vcc, s[0:1], vcc
	v_mul_f64 v[5:6], v[5:6], s[14:15]
	v_addc_co_u32_e32 v14, vcc, 0, v14, vcc
	v_cmp_gt_i32_e32 vcc, 31, v15
	v_cndmask_b32_e32 v14, v4, v14, vcc
	v_cmp_ne_u32_e32 vcc, 0, v7
	v_cndmask_b32_e64 v7, 0, 1, vcc
	v_lshl_or_b32 v7, v7, 9, v4
	v_cmp_eq_u32_e32 vcc, s17, v15
	v_and_or_b32 v5, v6, s10, v5
	v_cndmask_b32_e32 v7, v14, v7, vcc
	v_lshrrev_b32_e32 v8, 16, v8
	v_cmp_ne_u32_e32 vcc, 0, v5
	v_and_or_b32 v17, v8, s18, v7
	v_cndmask_b32_e64 v5, 0, 1, vcc
	v_lshrrev_b32_e32 v7, 8, v6
	v_bfe_u32 v8, v6, 20, 11
	v_and_or_b32 v5, v7, s16, v5
	v_sub_u32_e32 v14, 0x3f1, v8
	v_or_b32_e32 v7, 0x1000, v5
	v_med3_i32 v14, v14, 0, 13
	v_lshrrev_b32_e32 v15, v14, v7
	v_lshlrev_b32_e32 v14, v14, v15
	v_cmp_ne_u32_e32 vcc, v14, v7
	v_cndmask_b32_e64 v7, 0, 1, vcc
	v_add_u32_e32 v14, 0xfffffc10, v8
	v_or_b32_e32 v7, v15, v7
	v_lshl_or_b32 v8, v14, 12, v5
	v_cmp_gt_i32_e32 vcc, 1, v14
	v_cndmask_b32_e32 v7, v8, v7, vcc
	v_and_b32_e32 v8, 7, v7
	v_cmp_lt_i32_e32 vcc, 5, v8
	v_cmp_eq_u32_e64 s[0:1], 3, v8
	v_lshrrev_b32_e32 v7, 2, v7
	s_or_b64 vcc, s[0:1], vcc
	v_addc_co_u32_e32 v15, vcc, 0, v7, vcc
	v_add_u32_e32 v7, 0x600, v37
	ds_read2_b32 v[7:8], v7 offset0:66 offset1:216
	global_load_dword v19, v37, s[6:7] offset:2400
	global_load_dword v20, v37, s[6:7] offset:3000
	;; [unrolled: 1-line block ×3, first 2 shown]
	v_cmp_gt_i32_e32 vcc, 31, v14
	v_cndmask_b32_e32 v15, v4, v15, vcc
	v_cmp_ne_u32_e32 vcc, 0, v5
	s_waitcnt lgkmcnt(0)
	v_lshrrev_b32_e32 v18, 16, v7
	s_waitcnt vmcnt(4)
	v_mul_f16_sdwa v22, v18, v16 dst_sel:DWORD dst_unused:UNUSED_PAD src0_sel:DWORD src1_sel:WORD_1
	v_fma_f16 v22, v7, v16, v22
	v_cvt_f32_f16_e32 v22, v22
	v_cndmask_b32_e64 v5, 0, 1, vcc
	v_lshl_or_b32 v5, v5, 9, v4
	v_cmp_eq_u32_e32 vcc, s17, v14
	v_cndmask_b32_e32 v5, v15, v5, vcc
	v_cvt_f64_f32_e32 v[14:15], v22
	v_lshrrev_b32_e32 v6, 16, v6
	v_and_or_b32 v22, v6, s18, v5
	v_add_co_u32_e32 v2, vcc, s3, v2
	v_mul_f64 v[5:6], v[14:15], s[14:15]
	v_mov_b32_e32 v15, s2
	v_and_b32_e32 v17, 0xffff, v17
	v_addc_co_u32_e32 v3, vcc, v3, v15, vcc
	v_lshl_or_b32 v14, v22, 16, v17
	global_store_dword v[2:3], v14, off
	v_mul_f16_sdwa v7, v7, v16 dst_sel:DWORD dst_unused:UNUSED_PAD src0_sel:DWORD src1_sel:WORD_1
	v_and_or_b32 v5, v6, s10, v5
	v_cmp_ne_u32_e32 vcc, 0, v5
	v_cndmask_b32_e64 v5, 0, 1, vcc
	v_lshrrev_b32_e32 v14, 8, v6
	v_bfe_u32 v15, v6, 20, 11
	v_and_or_b32 v5, v14, s16, v5
	v_sub_u32_e32 v17, 0x3f1, v15
	v_or_b32_e32 v14, 0x1000, v5
	v_med3_i32 v17, v17, 0, 13
	v_lshrrev_b32_e32 v22, v17, v14
	v_lshlrev_b32_e32 v17, v17, v22
	v_cmp_ne_u32_e32 vcc, v17, v14
	v_fma_f16 v7, v16, v18, -v7
	v_cndmask_b32_e64 v14, 0, 1, vcc
	v_add_u32_e32 v17, 0xfffffc10, v15
	v_cvt_f32_f16_e32 v7, v7
	v_or_b32_e32 v14, v22, v14
	v_lshl_or_b32 v15, v17, 12, v5
	v_cmp_gt_i32_e32 vcc, 1, v17
	v_cndmask_b32_e32 v14, v15, v14, vcc
	v_and_b32_e32 v15, 7, v14
	v_cmp_lt_i32_e32 vcc, 5, v15
	v_cmp_eq_u32_e64 s[0:1], 3, v15
	v_lshrrev_b32_e32 v16, 2, v14
	v_cvt_f64_f32_e32 v[14:15], v7
	s_or_b64 vcc, s[0:1], vcc
	v_addc_co_u32_e32 v7, vcc, 0, v16, vcc
	v_mul_f64 v[14:15], v[14:15], s[14:15]
	v_cmp_gt_i32_e32 vcc, 31, v17
	v_cndmask_b32_e32 v7, v4, v7, vcc
	v_cmp_ne_u32_e32 vcc, 0, v5
	v_cndmask_b32_e64 v5, 0, 1, vcc
	v_lshl_or_b32 v5, v5, 9, v4
	v_cmp_eq_u32_e32 vcc, s17, v17
	v_cndmask_b32_e32 v5, v7, v5, vcc
	v_lshrrev_b32_e32 v6, 16, v6
	v_and_or_b32 v7, v6, s18, v5
	v_and_or_b32 v5, v15, s10, v14
	v_cmp_ne_u32_e32 vcc, 0, v5
	v_cndmask_b32_e64 v5, 0, 1, vcc
	v_lshrrev_b32_e32 v6, 8, v15
	v_bfe_u32 v14, v15, 20, 11
	v_and_or_b32 v5, v6, s16, v5
	v_sub_u32_e32 v16, 0x3f1, v14
	v_or_b32_e32 v6, 0x1000, v5
	v_med3_i32 v16, v16, 0, 13
	v_lshrrev_b32_e32 v17, v16, v6
	v_lshlrev_b32_e32 v16, v16, v17
	v_cmp_ne_u32_e32 vcc, v16, v6
	v_cndmask_b32_e64 v6, 0, 1, vcc
	v_add_u32_e32 v14, 0xfffffc10, v14
	v_or_b32_e32 v6, v17, v6
	v_lshl_or_b32 v16, v14, 12, v5
	v_cmp_gt_i32_e32 vcc, 1, v14
	v_cndmask_b32_e32 v6, v16, v6, vcc
	v_and_b32_e32 v16, 7, v6
	v_cmp_lt_i32_e32 vcc, 5, v16
	v_cmp_eq_u32_e64 s[0:1], 3, v16
	v_lshrrev_b32_e32 v16, 16, v8
	v_lshrrev_b32_e32 v6, 2, v6
	s_or_b64 vcc, s[0:1], vcc
	s_waitcnt vmcnt(3)
	v_mul_f16_sdwa v17, v16, v19 dst_sel:DWORD dst_unused:UNUSED_PAD src0_sel:DWORD src1_sel:WORD_1
	v_addc_co_u32_e32 v6, vcc, 0, v6, vcc
	v_fma_f16 v17, v8, v19, v17
	v_cmp_gt_i32_e32 vcc, 31, v14
	v_cvt_f32_f16_e32 v17, v17
	v_cndmask_b32_e32 v6, v4, v6, vcc
	v_cmp_ne_u32_e32 vcc, 0, v5
	v_cndmask_b32_e64 v5, 0, 1, vcc
	v_lshl_or_b32 v5, v5, 9, v4
	v_cmp_eq_u32_e32 vcc, s17, v14
	v_cndmask_b32_e32 v14, v6, v5, vcc
	v_cvt_f64_f32_e32 v[5:6], v17
	v_lshrrev_b32_e32 v15, 16, v15
	v_and_or_b32 v14, v15, s18, v14
	v_and_b32_e32 v7, 0xffff, v7
	v_mul_f64 v[5:6], v[5:6], s[14:15]
	v_lshl_or_b32 v7, v14, 16, v7
	v_mov_b32_e32 v14, s2
	v_add_co_u32_e32 v2, vcc, s3, v2
	v_addc_co_u32_e32 v3, vcc, v3, v14, vcc
	global_store_dword v[2:3], v7, off
	v_and_or_b32 v5, v6, s10, v5
	v_cmp_ne_u32_e32 vcc, 0, v5
	v_cndmask_b32_e64 v5, 0, 1, vcc
	v_lshrrev_b32_e32 v7, 8, v6
	v_bfe_u32 v14, v6, 20, 11
	v_and_or_b32 v5, v7, s16, v5
	v_sub_u32_e32 v15, 0x3f1, v14
	v_or_b32_e32 v7, 0x1000, v5
	v_med3_i32 v15, v15, 0, 13
	v_lshrrev_b32_e32 v17, v15, v7
	v_lshlrev_b32_e32 v15, v15, v17
	v_mul_f16_sdwa v8, v8, v19 dst_sel:DWORD dst_unused:UNUSED_PAD src0_sel:DWORD src1_sel:WORD_1
	v_cmp_ne_u32_e32 vcc, v15, v7
	v_fma_f16 v8, v19, v16, -v8
	v_cndmask_b32_e64 v7, 0, 1, vcc
	v_add_u32_e32 v14, 0xfffffc10, v14
	v_cvt_f32_f16_e32 v8, v8
	v_or_b32_e32 v7, v17, v7
	v_lshl_or_b32 v15, v14, 12, v5
	v_cmp_gt_i32_e32 vcc, 1, v14
	v_cndmask_b32_e32 v7, v15, v7, vcc
	v_and_b32_e32 v15, 7, v7
	v_cmp_lt_i32_e32 vcc, 5, v15
	v_cmp_eq_u32_e64 s[0:1], 3, v15
	v_lshrrev_b32_e32 v15, 2, v7
	v_cvt_f64_f32_e32 v[7:8], v8
	s_or_b64 vcc, s[0:1], vcc
	v_addc_co_u32_e32 v15, vcc, 0, v15, vcc
	v_mul_f64 v[7:8], v[7:8], s[14:15]
	v_cmp_gt_i32_e32 vcc, 31, v14
	v_cndmask_b32_e32 v15, v4, v15, vcc
	v_cmp_ne_u32_e32 vcc, 0, v5
	v_cndmask_b32_e64 v5, 0, 1, vcc
	v_lshl_or_b32 v5, v5, 9, v4
	v_cmp_eq_u32_e32 vcc, s17, v14
	v_cndmask_b32_e32 v5, v15, v5, vcc
	v_lshrrev_b32_e32 v6, 16, v6
	v_and_or_b32 v16, v6, s18, v5
	v_and_or_b32 v5, v8, s10, v7
	v_cmp_ne_u32_e32 vcc, 0, v5
	v_cndmask_b32_e64 v5, 0, 1, vcc
	v_lshrrev_b32_e32 v6, 8, v8
	v_and_or_b32 v7, v6, s16, v5
	v_bfe_u32 v6, v8, 20, 11
	v_sub_u32_e32 v14, 0x3f1, v6
	v_or_b32_e32 v5, 0x1000, v7
	v_med3_i32 v14, v14, 0, 13
	v_lshrrev_b32_e32 v15, v14, v5
	v_lshlrev_b32_e32 v14, v14, v15
	v_cmp_ne_u32_e32 vcc, v14, v5
	v_cndmask_b32_e64 v5, 0, 1, vcc
	v_add_u32_e32 v14, 0xfffffc10, v6
	v_or_b32_e32 v5, v15, v5
	v_lshl_or_b32 v6, v14, 12, v7
	v_cmp_gt_i32_e32 vcc, 1, v14
	v_cndmask_b32_e32 v5, v6, v5, vcc
	v_and_b32_e32 v6, 7, v5
	v_cmp_lt_i32_e32 vcc, 5, v6
	v_cmp_eq_u32_e64 s[0:1], 3, v6
	v_lshrrev_b32_e32 v5, 2, v5
	s_or_b64 vcc, s[0:1], vcc
	v_addc_co_u32_e32 v15, vcc, 0, v5, vcc
	v_add_u32_e32 v5, 0xb00, v37
	ds_read2_b32 v[5:6], v5 offset0:46 offset1:196
	v_cmp_gt_i32_e32 vcc, 31, v14
	v_cndmask_b32_e32 v15, v4, v15, vcc
	v_cmp_ne_u32_e32 vcc, 0, v7
	v_cndmask_b32_e64 v7, 0, 1, vcc
	s_waitcnt lgkmcnt(0)
	v_lshrrev_b32_e32 v17, 16, v5
	s_waitcnt vmcnt(3)
	v_mul_f16_sdwa v18, v17, v20 dst_sel:DWORD dst_unused:UNUSED_PAD src0_sel:DWORD src1_sel:WORD_1
	v_fma_f16 v18, v5, v20, v18
	v_cvt_f32_f16_e32 v18, v18
	v_lshl_or_b32 v7, v7, 9, v4
	v_cmp_eq_u32_e32 vcc, s17, v14
	v_cndmask_b32_e32 v7, v15, v7, vcc
	v_cvt_f64_f32_e32 v[14:15], v18
	v_lshrrev_b32_e32 v8, 16, v8
	v_and_or_b32 v18, v8, s18, v7
	v_add_co_u32_e32 v2, vcc, s3, v2
	v_mul_f64 v[7:8], v[14:15], s[14:15]
	v_mov_b32_e32 v15, s2
	v_and_b32_e32 v16, 0xffff, v16
	v_addc_co_u32_e32 v3, vcc, v3, v15, vcc
	v_lshl_or_b32 v14, v18, 16, v16
	global_store_dword v[2:3], v14, off
	v_mul_f16_sdwa v5, v5, v20 dst_sel:DWORD dst_unused:UNUSED_PAD src0_sel:DWORD src1_sel:WORD_1
	v_and_or_b32 v7, v8, s10, v7
	v_cmp_ne_u32_e32 vcc, 0, v7
	v_cndmask_b32_e64 v7, 0, 1, vcc
	v_lshrrev_b32_e32 v14, 8, v8
	v_bfe_u32 v15, v8, 20, 11
	v_and_or_b32 v7, v14, s16, v7
	v_sub_u32_e32 v16, 0x3f1, v15
	v_or_b32_e32 v14, 0x1000, v7
	v_med3_i32 v16, v16, 0, 13
	v_lshrrev_b32_e32 v18, v16, v14
	v_lshlrev_b32_e32 v16, v16, v18
	v_cmp_ne_u32_e32 vcc, v16, v14
	v_fma_f16 v5, v20, v17, -v5
	v_cndmask_b32_e64 v14, 0, 1, vcc
	v_add_u32_e32 v16, 0xfffffc10, v15
	v_cvt_f32_f16_e32 v5, v5
	v_or_b32_e32 v14, v18, v14
	v_lshl_or_b32 v15, v16, 12, v7
	v_cmp_gt_i32_e32 vcc, 1, v16
	v_cndmask_b32_e32 v14, v15, v14, vcc
	v_and_b32_e32 v15, 7, v14
	v_cmp_lt_i32_e32 vcc, 5, v15
	v_cmp_eq_u32_e64 s[0:1], 3, v15
	v_lshrrev_b32_e32 v17, 2, v14
	v_cvt_f64_f32_e32 v[14:15], v5
	s_or_b64 vcc, s[0:1], vcc
	v_addc_co_u32_e32 v5, vcc, 0, v17, vcc
	v_mul_f64 v[14:15], v[14:15], s[14:15]
	v_cmp_gt_i32_e32 vcc, 31, v16
	v_cndmask_b32_e32 v5, v4, v5, vcc
	v_cmp_ne_u32_e32 vcc, 0, v7
	v_cndmask_b32_e64 v7, 0, 1, vcc
	v_lshl_or_b32 v7, v7, 9, v4
	v_cmp_eq_u32_e32 vcc, s17, v16
	v_cndmask_b32_e32 v5, v5, v7, vcc
	v_lshrrev_b32_e32 v7, 16, v8
	v_and_or_b32 v5, v7, s18, v5
	v_and_or_b32 v7, v15, s10, v14
	v_cmp_ne_u32_e32 vcc, 0, v7
	v_cndmask_b32_e64 v7, 0, 1, vcc
	v_lshrrev_b32_e32 v8, 8, v15
	v_bfe_u32 v14, v15, 20, 11
	v_and_or_b32 v7, v8, s16, v7
	v_sub_u32_e32 v16, 0x3f1, v14
	v_or_b32_e32 v8, 0x1000, v7
	v_med3_i32 v16, v16, 0, 13
	v_lshrrev_b32_e32 v17, v16, v8
	v_lshlrev_b32_e32 v16, v16, v17
	v_cmp_ne_u32_e32 vcc, v16, v8
	v_cndmask_b32_e64 v8, 0, 1, vcc
	v_add_u32_e32 v14, 0xfffffc10, v14
	v_or_b32_e32 v8, v17, v8
	v_lshl_or_b32 v16, v14, 12, v7
	v_cmp_gt_i32_e32 vcc, 1, v14
	v_cndmask_b32_e32 v8, v16, v8, vcc
	v_and_b32_e32 v16, 7, v8
	v_cmp_lt_i32_e32 vcc, 5, v16
	v_cmp_eq_u32_e64 s[0:1], 3, v16
	v_lshrrev_b32_e32 v16, 16, v6
	v_lshrrev_b32_e32 v8, 2, v8
	s_or_b64 vcc, s[0:1], vcc
	s_waitcnt vmcnt(3)
	v_mul_f16_sdwa v17, v16, v21 dst_sel:DWORD dst_unused:UNUSED_PAD src0_sel:DWORD src1_sel:WORD_1
	v_addc_co_u32_e32 v8, vcc, 0, v8, vcc
	v_fma_f16 v17, v6, v21, v17
	v_cmp_gt_i32_e32 vcc, 31, v14
	v_cvt_f32_f16_e32 v17, v17
	v_cndmask_b32_e32 v8, v4, v8, vcc
	v_cmp_ne_u32_e32 vcc, 0, v7
	v_cndmask_b32_e64 v7, 0, 1, vcc
	v_lshl_or_b32 v7, v7, 9, v4
	v_cmp_eq_u32_e32 vcc, s17, v14
	v_cndmask_b32_e32 v14, v8, v7, vcc
	v_cvt_f64_f32_e32 v[7:8], v17
	v_lshrrev_b32_e32 v15, 16, v15
	v_and_or_b32 v14, v15, s18, v14
	v_and_b32_e32 v5, 0xffff, v5
	v_mul_f64 v[7:8], v[7:8], s[14:15]
	v_lshl_or_b32 v5, v14, 16, v5
	v_mov_b32_e32 v14, s2
	v_add_co_u32_e32 v2, vcc, s3, v2
	v_addc_co_u32_e32 v3, vcc, v3, v14, vcc
	global_store_dword v[2:3], v5, off
	v_and_or_b32 v5, v8, s10, v7
	v_cmp_ne_u32_e32 vcc, 0, v5
	v_cndmask_b32_e64 v5, 0, 1, vcc
	v_lshrrev_b32_e32 v7, 8, v8
	v_bfe_u32 v14, v8, 20, 11
	v_and_or_b32 v7, v7, s16, v5
	v_sub_u32_e32 v15, 0x3f1, v14
	v_or_b32_e32 v5, 0x1000, v7
	v_med3_i32 v15, v15, 0, 13
	v_lshrrev_b32_e32 v17, v15, v5
	v_lshlrev_b32_e32 v15, v15, v17
	v_mul_f16_sdwa v6, v6, v21 dst_sel:DWORD dst_unused:UNUSED_PAD src0_sel:DWORD src1_sel:WORD_1
	v_cmp_ne_u32_e32 vcc, v15, v5
	v_fma_f16 v6, v21, v16, -v6
	v_cndmask_b32_e64 v5, 0, 1, vcc
	v_add_u32_e32 v14, 0xfffffc10, v14
	v_cvt_f32_f16_e32 v6, v6
	v_or_b32_e32 v5, v17, v5
	v_lshl_or_b32 v15, v14, 12, v7
	v_cmp_gt_i32_e32 vcc, 1, v14
	v_cndmask_b32_e32 v5, v15, v5, vcc
	v_and_b32_e32 v15, 7, v5
	v_cmp_lt_i32_e32 vcc, 5, v15
	v_cmp_eq_u32_e64 s[0:1], 3, v15
	v_lshrrev_b32_e32 v15, 2, v5
	v_cvt_f64_f32_e32 v[5:6], v6
	s_or_b64 vcc, s[0:1], vcc
	v_addc_co_u32_e32 v15, vcc, 0, v15, vcc
	v_mul_f64 v[5:6], v[5:6], s[14:15]
	v_cmp_gt_i32_e32 vcc, 31, v14
	v_cndmask_b32_e32 v15, v4, v15, vcc
	v_cmp_ne_u32_e32 vcc, 0, v7
	v_cndmask_b32_e64 v7, 0, 1, vcc
	v_lshl_or_b32 v7, v7, 9, v4
	v_cmp_eq_u32_e32 vcc, s17, v14
	v_cndmask_b32_e32 v7, v15, v7, vcc
	v_and_or_b32 v5, v6, s10, v5
	v_lshrrev_b32_e32 v8, 16, v8
	v_cmp_ne_u32_e32 vcc, 0, v5
	v_and_or_b32 v16, v8, s18, v7
	v_cndmask_b32_e64 v5, 0, 1, vcc
	v_lshrrev_b32_e32 v7, 8, v6
	v_bfe_u32 v8, v6, 20, 11
	v_and_or_b32 v5, v7, s16, v5
	v_sub_u32_e32 v14, 0x3f1, v8
	v_or_b32_e32 v7, 0x1000, v5
	v_med3_i32 v14, v14, 0, 13
	v_lshrrev_b32_e32 v15, v14, v7
	v_lshlrev_b32_e32 v14, v14, v15
	v_cmp_ne_u32_e32 vcc, v14, v7
	v_cndmask_b32_e64 v7, 0, 1, vcc
	v_add_u32_e32 v14, 0xfffffc10, v8
	v_or_b32_e32 v7, v15, v7
	v_lshl_or_b32 v8, v14, 12, v5
	v_cmp_gt_i32_e32 vcc, 1, v14
	v_cndmask_b32_e32 v7, v8, v7, vcc
	v_and_b32_e32 v8, 7, v7
	v_cmp_lt_i32_e32 vcc, 5, v8
	v_cmp_eq_u32_e64 s[0:1], 3, v8
	v_lshrrev_b32_e32 v7, 2, v7
	s_or_b64 vcc, s[0:1], vcc
	v_addc_co_u32_e32 v15, vcc, 0, v7, vcc
	v_add_u32_e32 v7, 0x1000, v37
	ds_read2_b32 v[7:8], v7 offset0:26 offset1:176
	v_cmp_gt_i32_e32 vcc, 31, v14
	v_cndmask_b32_e32 v15, v4, v15, vcc
	v_cmp_ne_u32_e32 vcc, 0, v5
	v_cndmask_b32_e64 v5, 0, 1, vcc
	s_waitcnt lgkmcnt(0)
	v_lshrrev_b32_e32 v17, 16, v7
	v_mul_f16_sdwa v18, v17, v9 dst_sel:DWORD dst_unused:UNUSED_PAD src0_sel:DWORD src1_sel:WORD_1
	v_fma_f16 v18, v7, v9, v18
	v_cvt_f32_f16_e32 v18, v18
	v_lshl_or_b32 v5, v5, 9, v4
	v_cmp_eq_u32_e32 vcc, s17, v14
	v_cndmask_b32_e32 v5, v15, v5, vcc
	v_cvt_f64_f32_e32 v[14:15], v18
	v_lshrrev_b32_e32 v6, 16, v6
	v_and_or_b32 v18, v6, s18, v5
	v_add_co_u32_e32 v2, vcc, s3, v2
	v_mul_f64 v[5:6], v[14:15], s[14:15]
	v_mov_b32_e32 v15, s2
	v_and_b32_e32 v16, 0xffff, v16
	v_addc_co_u32_e32 v3, vcc, v3, v15, vcc
	v_lshl_or_b32 v14, v18, 16, v16
	global_store_dword v[2:3], v14, off
	v_mul_f16_sdwa v7, v7, v9 dst_sel:DWORD dst_unused:UNUSED_PAD src0_sel:DWORD src1_sel:WORD_1
	v_and_or_b32 v5, v6, s10, v5
	v_cmp_ne_u32_e32 vcc, 0, v5
	v_cndmask_b32_e64 v5, 0, 1, vcc
	v_lshrrev_b32_e32 v14, 8, v6
	v_bfe_u32 v15, v6, 20, 11
	v_and_or_b32 v5, v14, s16, v5
	v_sub_u32_e32 v16, 0x3f1, v15
	v_or_b32_e32 v14, 0x1000, v5
	v_med3_i32 v16, v16, 0, 13
	v_lshrrev_b32_e32 v18, v16, v14
	v_lshlrev_b32_e32 v16, v16, v18
	v_cmp_ne_u32_e32 vcc, v16, v14
	v_fma_f16 v7, v9, v17, -v7
	v_cndmask_b32_e64 v14, 0, 1, vcc
	v_add_u32_e32 v16, 0xfffffc10, v15
	v_cvt_f32_f16_e32 v7, v7
	v_or_b32_e32 v14, v18, v14
	v_lshl_or_b32 v15, v16, 12, v5
	v_cmp_gt_i32_e32 vcc, 1, v16
	v_cndmask_b32_e32 v14, v15, v14, vcc
	v_and_b32_e32 v15, 7, v14
	v_cmp_lt_i32_e32 vcc, 5, v15
	v_cmp_eq_u32_e64 s[0:1], 3, v15
	v_lshrrev_b32_e32 v9, 2, v14
	v_cvt_f64_f32_e32 v[14:15], v7
	s_or_b64 vcc, s[0:1], vcc
	v_addc_co_u32_e32 v7, vcc, 0, v9, vcc
	v_mul_f64 v[14:15], v[14:15], s[14:15]
	v_cmp_gt_i32_e32 vcc, 31, v16
	v_cndmask_b32_e32 v7, v4, v7, vcc
	v_cmp_ne_u32_e32 vcc, 0, v5
	v_cndmask_b32_e64 v5, 0, 1, vcc
	v_lshl_or_b32 v5, v5, 9, v4
	v_cmp_eq_u32_e32 vcc, s17, v16
	v_cndmask_b32_e32 v5, v7, v5, vcc
	v_lshrrev_b32_e32 v6, 16, v6
	v_and_or_b32 v7, v6, s18, v5
	v_and_or_b32 v5, v15, s10, v14
	v_cmp_ne_u32_e32 vcc, 0, v5
	v_cndmask_b32_e64 v5, 0, 1, vcc
	v_lshrrev_b32_e32 v6, 8, v15
	v_bfe_u32 v9, v15, 20, 11
	v_and_or_b32 v5, v6, s16, v5
	v_sub_u32_e32 v14, 0x3f1, v9
	v_or_b32_e32 v6, 0x1000, v5
	v_med3_i32 v14, v14, 0, 13
	v_lshrrev_b32_e32 v16, v14, v6
	v_lshlrev_b32_e32 v14, v14, v16
	v_cmp_ne_u32_e32 vcc, v14, v6
	v_cndmask_b32_e64 v6, 0, 1, vcc
	v_add_u32_e32 v9, 0xfffffc10, v9
	v_or_b32_e32 v6, v16, v6
	v_lshl_or_b32 v14, v9, 12, v5
	v_cmp_gt_i32_e32 vcc, 1, v9
	v_cndmask_b32_e32 v6, v14, v6, vcc
	v_and_b32_e32 v14, 7, v6
	v_cmp_lt_i32_e32 vcc, 5, v14
	v_cmp_eq_u32_e64 s[0:1], 3, v14
	v_lshrrev_b32_e32 v14, 16, v8
	v_lshrrev_b32_e32 v6, 2, v6
	s_or_b64 vcc, s[0:1], vcc
	v_mul_f16_sdwa v16, v14, v11 dst_sel:DWORD dst_unused:UNUSED_PAD src0_sel:DWORD src1_sel:WORD_1
	v_addc_co_u32_e32 v6, vcc, 0, v6, vcc
	v_fma_f16 v16, v8, v11, v16
	v_cmp_gt_i32_e32 vcc, 31, v9
	v_cvt_f32_f16_e32 v16, v16
	v_cndmask_b32_e32 v6, v4, v6, vcc
	v_cmp_ne_u32_e32 vcc, 0, v5
	v_cndmask_b32_e64 v5, 0, 1, vcc
	v_lshl_or_b32 v5, v5, 9, v4
	v_cmp_eq_u32_e32 vcc, s17, v9
	v_cndmask_b32_e32 v9, v6, v5, vcc
	v_cvt_f64_f32_e32 v[5:6], v16
	v_lshrrev_b32_e32 v15, 16, v15
	v_and_or_b32 v9, v15, s18, v9
	v_and_b32_e32 v7, 0xffff, v7
	v_mul_f64 v[5:6], v[5:6], s[14:15]
	v_lshl_or_b32 v7, v9, 16, v7
	v_mov_b32_e32 v9, s2
	v_add_co_u32_e32 v2, vcc, s3, v2
	v_addc_co_u32_e32 v3, vcc, v3, v9, vcc
	global_store_dword v[2:3], v7, off
	v_and_or_b32 v5, v6, s10, v5
	v_cmp_ne_u32_e32 vcc, 0, v5
	v_cndmask_b32_e64 v5, 0, 1, vcc
	v_lshrrev_b32_e32 v7, 8, v6
	v_bfe_u32 v9, v6, 20, 11
	v_and_or_b32 v5, v7, s16, v5
	v_sub_u32_e32 v15, 0x3f1, v9
	v_or_b32_e32 v7, 0x1000, v5
	v_med3_i32 v15, v15, 0, 13
	v_lshrrev_b32_e32 v16, v15, v7
	v_mul_f16_sdwa v8, v8, v11 dst_sel:DWORD dst_unused:UNUSED_PAD src0_sel:DWORD src1_sel:WORD_1
	v_lshlrev_b32_e32 v15, v15, v16
	v_fma_f16 v8, v11, v14, -v8
	v_cmp_ne_u32_e32 vcc, v15, v7
	v_cvt_f32_f16_e32 v8, v8
	v_cndmask_b32_e64 v7, 0, 1, vcc
	v_add_u32_e32 v9, 0xfffffc10, v9
	v_or_b32_e32 v7, v16, v7
	v_lshl_or_b32 v15, v9, 12, v5
	v_cmp_gt_i32_e32 vcc, 1, v9
	v_cndmask_b32_e32 v7, v15, v7, vcc
	v_and_b32_e32 v15, 7, v7
	v_lshrrev_b32_e32 v11, 2, v7
	v_cvt_f64_f32_e32 v[7:8], v8
	v_cmp_lt_i32_e32 vcc, 5, v15
	v_cmp_eq_u32_e64 s[0:1], 3, v15
	s_or_b64 vcc, s[0:1], vcc
	v_mul_f64 v[7:8], v[7:8], s[14:15]
	v_addc_co_u32_e32 v11, vcc, 0, v11, vcc
	v_cmp_gt_i32_e32 vcc, 31, v9
	v_cndmask_b32_e32 v11, v4, v11, vcc
	v_cmp_ne_u32_e32 vcc, 0, v5
	v_cndmask_b32_e64 v5, 0, 1, vcc
	v_lshl_or_b32 v5, v5, 9, v4
	v_cmp_eq_u32_e32 vcc, s17, v9
	v_cndmask_b32_e32 v5, v11, v5, vcc
	v_lshrrev_b32_e32 v6, 16, v6
	v_and_or_b32 v9, v6, s18, v5
	v_and_or_b32 v5, v8, s10, v7
	v_cmp_ne_u32_e32 vcc, 0, v5
	v_cndmask_b32_e64 v5, 0, 1, vcc
	v_lshrrev_b32_e32 v6, 8, v8
	v_and_or_b32 v7, v6, s16, v5
	v_bfe_u32 v6, v8, 20, 11
	v_sub_u32_e32 v11, 0x3f1, v6
	v_or_b32_e32 v5, 0x1000, v7
	v_med3_i32 v11, v11, 0, 13
	v_lshrrev_b32_e32 v14, v11, v5
	v_lshlrev_b32_e32 v11, v11, v14
	v_cmp_ne_u32_e32 vcc, v11, v5
	v_cndmask_b32_e64 v5, 0, 1, vcc
	v_add_u32_e32 v11, 0xfffffc10, v6
	v_or_b32_e32 v5, v14, v5
	v_lshl_or_b32 v6, v11, 12, v7
	v_cmp_gt_i32_e32 vcc, 1, v11
	v_cndmask_b32_e32 v5, v6, v5, vcc
	v_and_b32_e32 v6, 7, v5
	v_cmp_lt_i32_e32 vcc, 5, v6
	v_cmp_eq_u32_e64 s[0:1], 3, v6
	v_lshrrev_b32_e32 v5, 2, v5
	s_or_b64 vcc, s[0:1], vcc
	v_addc_co_u32_e32 v14, vcc, 0, v5, vcc
	v_add_u32_e32 v5, 0x1400, v37
	ds_read2_b32 v[5:6], v5 offset0:70 offset1:220
	v_cmp_gt_i32_e32 vcc, 31, v11
	v_cndmask_b32_e32 v14, v4, v14, vcc
	v_cmp_ne_u32_e32 vcc, 0, v7
	v_cndmask_b32_e64 v7, 0, 1, vcc
	s_waitcnt lgkmcnt(0)
	v_lshrrev_b32_e32 v16, 16, v5
	v_mul_f16_sdwa v15, v16, v12 dst_sel:DWORD dst_unused:UNUSED_PAD src0_sel:DWORD src1_sel:WORD_1
	v_fma_f16 v15, v5, v12, v15
	v_cvt_f32_f16_e32 v15, v15
	v_lshl_or_b32 v7, v7, 9, v4
	v_cmp_eq_u32_e32 vcc, s17, v11
	v_cndmask_b32_e32 v7, v14, v7, vcc
	v_cvt_f64_f32_e32 v[14:15], v15
	v_lshrrev_b32_e32 v8, 16, v8
	v_and_or_b32 v11, v8, s18, v7
	v_and_b32_e32 v9, 0xffff, v9
	v_mul_f64 v[7:8], v[14:15], s[14:15]
	v_lshl_or_b32 v9, v11, 16, v9
	v_mov_b32_e32 v11, s2
	v_add_co_u32_e32 v2, vcc, s3, v2
	v_addc_co_u32_e32 v3, vcc, v3, v11, vcc
	global_store_dword v[2:3], v9, off
	v_and_or_b32 v7, v8, s10, v7
	v_cmp_ne_u32_e32 vcc, 0, v7
	v_cndmask_b32_e64 v7, 0, 1, vcc
	v_lshrrev_b32_e32 v9, 8, v8
	v_bfe_u32 v11, v8, 20, 11
	v_and_or_b32 v7, v9, s16, v7
	v_sub_u32_e32 v14, 0x3f1, v11
	v_or_b32_e32 v9, 0x1000, v7
	v_med3_i32 v14, v14, 0, 13
	v_lshrrev_b32_e32 v15, v14, v9
	v_lshlrev_b32_e32 v14, v14, v15
	v_mul_f16_sdwa v5, v5, v12 dst_sel:DWORD dst_unused:UNUSED_PAD src0_sel:DWORD src1_sel:WORD_1
	v_cmp_ne_u32_e32 vcc, v14, v9
	v_fma_f16 v5, v12, v16, -v5
	v_cndmask_b32_e64 v9, 0, 1, vcc
	v_add_u32_e32 v14, 0xfffffc10, v11
	v_cvt_f32_f16_e32 v5, v5
	v_or_b32_e32 v9, v15, v9
	v_lshl_or_b32 v11, v14, 12, v7
	v_cmp_gt_i32_e32 vcc, 1, v14
	v_cndmask_b32_e32 v9, v11, v9, vcc
	v_and_b32_e32 v11, 7, v9
	v_cmp_lt_i32_e32 vcc, 5, v11
	v_cmp_eq_u32_e64 s[0:1], 3, v11
	v_cvt_f64_f32_e32 v[11:12], v5
	v_lshrrev_b32_e32 v9, 2, v9
	s_or_b64 vcc, s[0:1], vcc
	v_addc_co_u32_e32 v5, vcc, 0, v9, vcc
	v_mul_f64 v[11:12], v[11:12], s[14:15]
	v_cmp_gt_i32_e32 vcc, 31, v14
	v_cndmask_b32_e32 v5, v4, v5, vcc
	v_cmp_ne_u32_e32 vcc, 0, v7
	v_cndmask_b32_e64 v7, 0, 1, vcc
	v_lshl_or_b32 v7, v7, 9, v4
	v_cmp_eq_u32_e32 vcc, s17, v14
	v_cndmask_b32_e32 v5, v5, v7, vcc
	v_lshrrev_b32_e32 v7, 16, v8
	v_and_or_b32 v5, v7, s18, v5
	v_and_or_b32 v7, v12, s10, v11
	v_cmp_ne_u32_e32 vcc, 0, v7
	v_cndmask_b32_e64 v7, 0, 1, vcc
	v_lshrrev_b32_e32 v8, 8, v12
	v_bfe_u32 v9, v12, 20, 11
	v_and_or_b32 v7, v8, s16, v7
	v_sub_u32_e32 v11, 0x3f1, v9
	v_or_b32_e32 v8, 0x1000, v7
	v_med3_i32 v11, v11, 0, 13
	v_lshrrev_b32_e32 v14, v11, v8
	v_lshlrev_b32_e32 v11, v11, v14
	v_cmp_ne_u32_e32 vcc, v11, v8
	v_cndmask_b32_e64 v8, 0, 1, vcc
	v_add_u32_e32 v9, 0xfffffc10, v9
	v_or_b32_e32 v8, v14, v8
	v_lshl_or_b32 v11, v9, 12, v7
	v_cmp_gt_i32_e32 vcc, 1, v9
	v_cndmask_b32_e32 v8, v11, v8, vcc
	v_and_b32_e32 v11, 7, v8
	v_cmp_lt_i32_e32 vcc, 5, v11
	v_cmp_eq_u32_e64 s[0:1], 3, v11
	v_lshrrev_b32_e32 v11, 16, v6
	v_lshrrev_b32_e32 v8, 2, v8
	s_or_b64 vcc, s[0:1], vcc
	v_mul_f16_sdwa v14, v11, v13 dst_sel:DWORD dst_unused:UNUSED_PAD src0_sel:DWORD src1_sel:WORD_1
	v_addc_co_u32_e32 v8, vcc, 0, v8, vcc
	v_fma_f16 v14, v6, v13, v14
	v_cmp_gt_i32_e32 vcc, 31, v9
	v_cvt_f32_f16_e32 v14, v14
	v_cndmask_b32_e32 v8, v4, v8, vcc
	v_cmp_ne_u32_e32 vcc, 0, v7
	v_cndmask_b32_e64 v7, 0, 1, vcc
	v_lshl_or_b32 v7, v7, 9, v4
	v_cmp_eq_u32_e32 vcc, s17, v9
	v_cndmask_b32_e32 v9, v8, v7, vcc
	v_cvt_f64_f32_e32 v[7:8], v14
	v_lshrrev_b32_e32 v12, 16, v12
	v_and_or_b32 v9, v12, s18, v9
	v_and_b32_e32 v5, 0xffff, v5
	v_mul_f64 v[7:8], v[7:8], s[14:15]
	v_lshl_or_b32 v5, v9, 16, v5
	v_mov_b32_e32 v9, s2
	v_add_co_u32_e32 v2, vcc, s3, v2
	v_addc_co_u32_e32 v3, vcc, v3, v9, vcc
	global_store_dword v[2:3], v5, off
	v_and_or_b32 v5, v8, s10, v7
	v_cmp_ne_u32_e32 vcc, 0, v5
	v_cndmask_b32_e64 v5, 0, 1, vcc
	v_lshrrev_b32_e32 v7, 8, v8
	v_bfe_u32 v9, v8, 20, 11
	v_and_or_b32 v7, v7, s16, v5
	v_sub_u32_e32 v12, 0x3f1, v9
	v_or_b32_e32 v5, 0x1000, v7
	v_med3_i32 v12, v12, 0, 13
	v_lshrrev_b32_e32 v14, v12, v5
	v_mul_f16_sdwa v6, v6, v13 dst_sel:DWORD dst_unused:UNUSED_PAD src0_sel:DWORD src1_sel:WORD_1
	v_lshlrev_b32_e32 v12, v12, v14
	v_fma_f16 v6, v13, v11, -v6
	v_cmp_ne_u32_e32 vcc, v12, v5
	v_cvt_f32_f16_e32 v6, v6
	v_cndmask_b32_e64 v5, 0, 1, vcc
	v_add_u32_e32 v9, 0xfffffc10, v9
	v_or_b32_e32 v5, v14, v5
	v_lshl_or_b32 v12, v9, 12, v7
	v_cmp_gt_i32_e32 vcc, 1, v9
	v_cndmask_b32_e32 v5, v12, v5, vcc
	v_and_b32_e32 v12, 7, v5
	v_lshrrev_b32_e32 v11, 2, v5
	v_cvt_f64_f32_e32 v[5:6], v6
	v_cmp_lt_i32_e32 vcc, 5, v12
	v_cmp_eq_u32_e64 s[0:1], 3, v12
	s_or_b64 vcc, s[0:1], vcc
	v_mul_f64 v[5:6], v[5:6], s[14:15]
	v_addc_co_u32_e32 v11, vcc, 0, v11, vcc
	v_cmp_gt_i32_e32 vcc, 31, v9
	v_cndmask_b32_e32 v11, v4, v11, vcc
	v_cmp_ne_u32_e32 vcc, 0, v7
	v_cndmask_b32_e64 v7, 0, 1, vcc
	v_lshl_or_b32 v7, v7, 9, v4
	v_cmp_eq_u32_e32 vcc, s17, v9
	v_and_or_b32 v5, v6, s10, v5
	v_cndmask_b32_e32 v7, v11, v7, vcc
	v_lshrrev_b32_e32 v8, 16, v8
	v_cmp_ne_u32_e32 vcc, 0, v5
	v_and_or_b32 v9, v8, s18, v7
	v_cndmask_b32_e64 v5, 0, 1, vcc
	v_lshrrev_b32_e32 v7, 8, v6
	v_bfe_u32 v8, v6, 20, 11
	v_and_or_b32 v5, v7, s16, v5
	v_sub_u32_e32 v11, 0x3f1, v8
	v_or_b32_e32 v7, 0x1000, v5
	v_med3_i32 v11, v11, 0, 13
	v_lshrrev_b32_e32 v12, v11, v7
	v_lshlrev_b32_e32 v11, v11, v12
	v_cmp_ne_u32_e32 vcc, v11, v7
	v_cndmask_b32_e64 v7, 0, 1, vcc
	v_add_u32_e32 v11, 0xfffffc10, v8
	v_or_b32_e32 v7, v12, v7
	v_lshl_or_b32 v8, v11, 12, v5
	v_cmp_gt_i32_e32 vcc, 1, v11
	v_cndmask_b32_e32 v7, v8, v7, vcc
	v_and_b32_e32 v8, 7, v7
	v_cmp_lt_i32_e32 vcc, 5, v8
	v_cmp_eq_u32_e64 s[0:1], 3, v8
	v_lshrrev_b32_e32 v7, 2, v7
	s_or_b64 vcc, s[0:1], vcc
	v_addc_co_u32_e32 v12, vcc, 0, v7, vcc
	v_add_u32_e32 v7, 0x1900, v37
	ds_read2_b32 v[7:8], v7 offset0:50 offset1:200
	v_cmp_gt_i32_e32 vcc, 31, v11
	v_cndmask_b32_e32 v12, v4, v12, vcc
	v_cmp_ne_u32_e32 vcc, 0, v5
	v_cndmask_b32_e64 v5, 0, 1, vcc
	s_waitcnt lgkmcnt(0)
	v_lshrrev_b32_e32 v13, 16, v7
	v_mul_f16_sdwa v14, v13, v10 dst_sel:DWORD dst_unused:UNUSED_PAD src0_sel:DWORD src1_sel:WORD_1
	v_fma_f16 v14, v7, v10, v14
	v_cvt_f32_f16_e32 v14, v14
	v_lshl_or_b32 v5, v5, 9, v4
	v_cmp_eq_u32_e32 vcc, s17, v11
	v_cndmask_b32_e32 v5, v12, v5, vcc
	v_cvt_f64_f32_e32 v[11:12], v14
	v_lshrrev_b32_e32 v6, 16, v6
	v_and_or_b32 v14, v6, s18, v5
	v_add_co_u32_e32 v2, vcc, s3, v2
	v_mul_f64 v[5:6], v[11:12], s[14:15]
	v_mov_b32_e32 v11, s2
	v_and_b32_e32 v9, 0xffff, v9
	v_addc_co_u32_e32 v3, vcc, v3, v11, vcc
	v_lshl_or_b32 v9, v14, 16, v9
	global_store_dword v[2:3], v9, off
	v_mul_f16_sdwa v7, v7, v10 dst_sel:DWORD dst_unused:UNUSED_PAD src0_sel:DWORD src1_sel:WORD_1
	v_and_or_b32 v5, v6, s10, v5
	v_cmp_ne_u32_e32 vcc, 0, v5
	v_cndmask_b32_e64 v5, 0, 1, vcc
	v_lshrrev_b32_e32 v9, 8, v6
	v_bfe_u32 v11, v6, 20, 11
	v_and_or_b32 v5, v9, s16, v5
	v_sub_u32_e32 v12, 0x3f1, v11
	v_or_b32_e32 v9, 0x1000, v5
	v_med3_i32 v12, v12, 0, 13
	v_lshrrev_b32_e32 v14, v12, v9
	v_lshlrev_b32_e32 v12, v12, v14
	v_cmp_ne_u32_e32 vcc, v12, v9
	v_fma_f16 v7, v10, v13, -v7
	v_cndmask_b32_e64 v9, 0, 1, vcc
	v_add_u32_e32 v11, 0xfffffc10, v11
	v_cvt_f32_f16_e32 v7, v7
	v_or_b32_e32 v9, v14, v9
	v_lshl_or_b32 v12, v11, 12, v5
	v_cmp_gt_i32_e32 vcc, 1, v11
	v_cndmask_b32_e32 v9, v12, v9, vcc
	v_and_b32_e32 v12, 7, v9
	v_cmp_lt_i32_e32 vcc, 5, v12
	v_cmp_eq_u32_e64 s[0:1], 3, v12
	v_lshrrev_b32_e32 v12, 2, v9
	v_cvt_f64_f32_e32 v[9:10], v7
	s_or_b64 vcc, s[0:1], vcc
	v_addc_co_u32_e32 v7, vcc, 0, v12, vcc
	v_mul_f64 v[9:10], v[9:10], s[14:15]
	v_cmp_gt_i32_e32 vcc, 31, v11
	v_cndmask_b32_e32 v7, v4, v7, vcc
	v_cmp_ne_u32_e32 vcc, 0, v5
	v_cndmask_b32_e64 v5, 0, 1, vcc
	v_lshl_or_b32 v5, v5, 9, v4
	v_cmp_eq_u32_e32 vcc, s17, v11
	v_cndmask_b32_e32 v5, v7, v5, vcc
	v_lshrrev_b32_e32 v6, 16, v6
	v_and_or_b32 v5, v6, s18, v5
	v_and_or_b32 v6, v10, s10, v9
	v_cmp_ne_u32_e32 vcc, 0, v6
	v_cndmask_b32_e64 v6, 0, 1, vcc
	v_lshrrev_b32_e32 v7, 8, v10
	v_bfe_u32 v9, v10, 20, 11
	v_and_or_b32 v6, v7, s16, v6
	v_sub_u32_e32 v11, 0x3f1, v9
	v_or_b32_e32 v7, 0x1000, v6
	v_med3_i32 v11, v11, 0, 13
	v_lshrrev_b32_e32 v12, v11, v7
	v_lshlrev_b32_e32 v11, v11, v12
	v_cmp_ne_u32_e32 vcc, v11, v7
	v_cndmask_b32_e64 v7, 0, 1, vcc
	v_add_u32_e32 v9, 0xfffffc10, v9
	v_or_b32_e32 v7, v12, v7
	v_lshl_or_b32 v11, v9, 12, v6
	v_cmp_gt_i32_e32 vcc, 1, v9
	v_cndmask_b32_e32 v7, v11, v7, vcc
	v_and_b32_e32 v11, 7, v7
	v_cmp_lt_i32_e32 vcc, 5, v11
	v_cmp_eq_u32_e64 s[0:1], 3, v11
	v_lshrrev_b32_e32 v7, 2, v7
	s_or_b64 vcc, s[0:1], vcc
	v_addc_co_u32_e32 v7, vcc, 0, v7, vcc
	v_cmp_gt_i32_e32 vcc, 31, v9
	v_cndmask_b32_e32 v7, v4, v7, vcc
	v_cmp_ne_u32_e32 vcc, 0, v6
	v_cndmask_b32_e64 v6, 0, 1, vcc
	v_lshl_or_b32 v6, v6, 9, v4
	v_cmp_eq_u32_e32 vcc, s17, v9
	v_cndmask_b32_e32 v6, v7, v6, vcc
	v_lshrrev_b32_e32 v7, 16, v10
	v_and_or_b32 v6, v7, s18, v6
	v_and_b32_e32 v5, 0xffff, v5
	v_lshl_or_b32 v5, v6, 16, v5
	v_mov_b32_e32 v6, s2
	v_add_co_u32_e32 v2, vcc, s3, v2
	v_addc_co_u32_e32 v3, vcc, v3, v6, vcc
	global_store_dword v[2:3], v5, off
	global_load_dword v5, v[0:1], off offset:3104
	v_lshrrev_b32_e32 v6, 16, v8
	s_waitcnt vmcnt(0)
	v_mul_f16_sdwa v0, v6, v5 dst_sel:DWORD dst_unused:UNUSED_PAD src0_sel:DWORD src1_sel:WORD_1
	v_fma_f16 v0, v8, v5, v0
	v_cvt_f32_f16_e32 v0, v0
	v_mul_f16_sdwa v8, v8, v5 dst_sel:DWORD dst_unused:UNUSED_PAD src0_sel:DWORD src1_sel:WORD_1
	v_fma_f16 v5, v5, v6, -v8
	v_cvt_f32_f16_e32 v5, v5
	v_cvt_f64_f32_e32 v[0:1], v0
	v_cvt_f64_f32_e32 v[5:6], v5
	v_mul_f64 v[0:1], v[0:1], s[14:15]
	v_mul_f64 v[5:6], v[5:6], s[14:15]
	v_and_or_b32 v0, v1, s10, v0
	v_cmp_ne_u32_e32 vcc, 0, v0
	v_cndmask_b32_e64 v0, 0, 1, vcc
	v_lshrrev_b32_e32 v7, 8, v1
	v_bfe_u32 v9, v1, 20, 11
	v_and_or_b32 v0, v7, s16, v0
	v_sub_u32_e32 v10, 0x3f1, v9
	v_or_b32_e32 v7, 0x1000, v0
	v_med3_i32 v10, v10, 0, 13
	v_lshrrev_b32_e32 v11, v10, v7
	v_lshlrev_b32_e32 v10, v10, v11
	v_cmp_ne_u32_e32 vcc, v10, v7
	v_cndmask_b32_e64 v7, 0, 1, vcc
	v_add_u32_e32 v9, 0xfffffc10, v9
	v_or_b32_e32 v7, v11, v7
	v_lshl_or_b32 v10, v9, 12, v0
	v_cmp_gt_i32_e32 vcc, 1, v9
	v_cndmask_b32_e32 v7, v10, v7, vcc
	v_and_b32_e32 v10, 7, v7
	v_cmp_lt_i32_e32 vcc, 5, v10
	v_cmp_eq_u32_e64 s[0:1], 3, v10
	v_lshrrev_b32_e32 v7, 2, v7
	s_or_b64 vcc, s[0:1], vcc
	v_addc_co_u32_e32 v7, vcc, 0, v7, vcc
	v_cmp_gt_i32_e32 vcc, 31, v9
	v_cndmask_b32_e32 v7, v4, v7, vcc
	v_cmp_ne_u32_e32 vcc, 0, v0
	v_cndmask_b32_e64 v0, 0, 1, vcc
	v_lshl_or_b32 v0, v0, 9, v4
	v_cmp_eq_u32_e32 vcc, s17, v9
	v_cndmask_b32_e32 v0, v7, v0, vcc
	v_lshrrev_b32_e32 v1, 16, v1
	v_and_or_b32 v0, v1, s18, v0
	v_and_or_b32 v1, v6, s10, v5
	v_cmp_ne_u32_e32 vcc, 0, v1
	v_cndmask_b32_e64 v1, 0, 1, vcc
	v_lshrrev_b32_e32 v5, 8, v6
	v_bfe_u32 v7, v6, 20, 11
	v_and_or_b32 v1, v5, s16, v1
	v_sub_u32_e32 v8, 0x3f1, v7
	v_or_b32_e32 v5, 0x1000, v1
	v_med3_i32 v8, v8, 0, 13
	v_lshrrev_b32_e32 v9, v8, v5
	v_lshlrev_b32_e32 v8, v8, v9
	v_cmp_ne_u32_e32 vcc, v8, v5
	v_cndmask_b32_e64 v5, 0, 1, vcc
	v_add_u32_e32 v7, 0xfffffc10, v7
	v_or_b32_e32 v5, v9, v5
	v_lshl_or_b32 v8, v7, 12, v1
	v_cmp_gt_i32_e32 vcc, 1, v7
	v_cndmask_b32_e32 v5, v8, v5, vcc
	v_and_b32_e32 v8, 7, v5
	v_cmp_lt_i32_e32 vcc, 5, v8
	v_cmp_eq_u32_e64 s[0:1], 3, v8
	v_lshrrev_b32_e32 v5, 2, v5
	s_or_b64 vcc, s[0:1], vcc
	v_addc_co_u32_e32 v5, vcc, 0, v5, vcc
	v_cmp_gt_i32_e32 vcc, 31, v7
	v_cndmask_b32_e32 v5, v4, v5, vcc
	v_cmp_ne_u32_e32 vcc, 0, v1
	v_cndmask_b32_e64 v1, 0, 1, vcc
	v_lshl_or_b32 v1, v1, 9, v4
	v_cmp_eq_u32_e32 vcc, s17, v7
	v_cndmask_b32_e32 v1, v5, v1, vcc
	v_lshrrev_b32_e32 v4, 16, v6
	v_and_or_b32 v1, v4, s18, v1
	v_and_b32_e32 v0, 0xffff, v0
	v_lshl_or_b32 v4, v1, 16, v0
	v_mov_b32_e32 v1, s2
	v_add_co_u32_e32 v0, vcc, s3, v2
	v_addc_co_u32_e32 v1, vcc, v3, v1, vcc
	global_store_dword v[0:1], v4, off
.LBB0_23:
	s_endpgm
	.section	.rodata,"a",@progbits
	.p2align	6, 0x0
	.amdhsa_kernel bluestein_single_back_len1950_dim1_half_op_CI_CI
		.amdhsa_group_segment_fixed_size 7800
		.amdhsa_private_segment_fixed_size 0
		.amdhsa_kernarg_size 104
		.amdhsa_user_sgpr_count 6
		.amdhsa_user_sgpr_private_segment_buffer 1
		.amdhsa_user_sgpr_dispatch_ptr 0
		.amdhsa_user_sgpr_queue_ptr 0
		.amdhsa_user_sgpr_kernarg_segment_ptr 1
		.amdhsa_user_sgpr_dispatch_id 0
		.amdhsa_user_sgpr_flat_scratch_init 0
		.amdhsa_user_sgpr_private_segment_size 0
		.amdhsa_uses_dynamic_stack 0
		.amdhsa_system_sgpr_private_segment_wavefront_offset 0
		.amdhsa_system_sgpr_workgroup_id_x 1
		.amdhsa_system_sgpr_workgroup_id_y 0
		.amdhsa_system_sgpr_workgroup_id_z 0
		.amdhsa_system_sgpr_workgroup_info 0
		.amdhsa_system_vgpr_workitem_id 0
		.amdhsa_next_free_vgpr 154
		.amdhsa_next_free_sgpr 32
		.amdhsa_reserve_vcc 1
		.amdhsa_reserve_flat_scratch 0
		.amdhsa_float_round_mode_32 0
		.amdhsa_float_round_mode_16_64 0
		.amdhsa_float_denorm_mode_32 3
		.amdhsa_float_denorm_mode_16_64 3
		.amdhsa_dx10_clamp 1
		.amdhsa_ieee_mode 1
		.amdhsa_fp16_overflow 0
		.amdhsa_exception_fp_ieee_invalid_op 0
		.amdhsa_exception_fp_denorm_src 0
		.amdhsa_exception_fp_ieee_div_zero 0
		.amdhsa_exception_fp_ieee_overflow 0
		.amdhsa_exception_fp_ieee_underflow 0
		.amdhsa_exception_fp_ieee_inexact 0
		.amdhsa_exception_int_div_zero 0
	.end_amdhsa_kernel
	.text
.Lfunc_end0:
	.size	bluestein_single_back_len1950_dim1_half_op_CI_CI, .Lfunc_end0-bluestein_single_back_len1950_dim1_half_op_CI_CI
                                        ; -- End function
	.section	.AMDGPU.csdata,"",@progbits
; Kernel info:
; codeLenInByte = 22728
; NumSgprs: 36
; NumVgprs: 154
; ScratchSize: 0
; MemoryBound: 0
; FloatMode: 240
; IeeeMode: 1
; LDSByteSize: 7800 bytes/workgroup (compile time only)
; SGPRBlocks: 4
; VGPRBlocks: 38
; NumSGPRsForWavesPerEU: 36
; NumVGPRsForWavesPerEU: 154
; Occupancy: 1
; WaveLimiterHint : 1
; COMPUTE_PGM_RSRC2:SCRATCH_EN: 0
; COMPUTE_PGM_RSRC2:USER_SGPR: 6
; COMPUTE_PGM_RSRC2:TRAP_HANDLER: 0
; COMPUTE_PGM_RSRC2:TGID_X_EN: 1
; COMPUTE_PGM_RSRC2:TGID_Y_EN: 0
; COMPUTE_PGM_RSRC2:TGID_Z_EN: 0
; COMPUTE_PGM_RSRC2:TIDIG_COMP_CNT: 0
	.type	__hip_cuid_1a967c7ed4855912,@object ; @__hip_cuid_1a967c7ed4855912
	.section	.bss,"aw",@nobits
	.globl	__hip_cuid_1a967c7ed4855912
__hip_cuid_1a967c7ed4855912:
	.byte	0                               ; 0x0
	.size	__hip_cuid_1a967c7ed4855912, 1

	.ident	"AMD clang version 19.0.0git (https://github.com/RadeonOpenCompute/llvm-project roc-6.4.0 25133 c7fe45cf4b819c5991fe208aaa96edf142730f1d)"
	.section	".note.GNU-stack","",@progbits
	.addrsig
	.addrsig_sym __hip_cuid_1a967c7ed4855912
	.amdgpu_metadata
---
amdhsa.kernels:
  - .args:
      - .actual_access:  read_only
        .address_space:  global
        .offset:         0
        .size:           8
        .value_kind:     global_buffer
      - .actual_access:  read_only
        .address_space:  global
        .offset:         8
        .size:           8
        .value_kind:     global_buffer
      - .actual_access:  read_only
        .address_space:  global
        .offset:         16
        .size:           8
        .value_kind:     global_buffer
      - .actual_access:  read_only
        .address_space:  global
        .offset:         24
        .size:           8
        .value_kind:     global_buffer
      - .actual_access:  read_only
        .address_space:  global
        .offset:         32
        .size:           8
        .value_kind:     global_buffer
      - .offset:         40
        .size:           8
        .value_kind:     by_value
      - .address_space:  global
        .offset:         48
        .size:           8
        .value_kind:     global_buffer
      - .address_space:  global
        .offset:         56
        .size:           8
        .value_kind:     global_buffer
      - .address_space:  global
        .offset:         64
        .size:           8
        .value_kind:     global_buffer
      - .address_space:  global
        .offset:         72
        .size:           8
        .value_kind:     global_buffer
      - .offset:         80
        .size:           4
        .value_kind:     by_value
      - .address_space:  global
        .offset:         88
        .size:           8
        .value_kind:     global_buffer
      - .address_space:  global
        .offset:         96
        .size:           8
        .value_kind:     global_buffer
    .group_segment_fixed_size: 7800
    .kernarg_segment_align: 8
    .kernarg_segment_size: 104
    .language:       OpenCL C
    .language_version:
      - 2
      - 0
    .max_flat_workgroup_size: 195
    .name:           bluestein_single_back_len1950_dim1_half_op_CI_CI
    .private_segment_fixed_size: 0
    .sgpr_count:     36
    .sgpr_spill_count: 0
    .symbol:         bluestein_single_back_len1950_dim1_half_op_CI_CI.kd
    .uniform_work_group_size: 1
    .uses_dynamic_stack: false
    .vgpr_count:     154
    .vgpr_spill_count: 0
    .wavefront_size: 64
amdhsa.target:   amdgcn-amd-amdhsa--gfx906
amdhsa.version:
  - 1
  - 2
...

	.end_amdgpu_metadata
